;; amdgpu-corpus repo=ROCm/rocFFT kind=compiled arch=gfx950 opt=O3
	.text
	.amdgcn_target "amdgcn-amd-amdhsa--gfx950"
	.amdhsa_code_object_version 6
	.protected	bluestein_single_back_len1540_dim1_dp_op_CI_CI ; -- Begin function bluestein_single_back_len1540_dim1_dp_op_CI_CI
	.globl	bluestein_single_back_len1540_dim1_dp_op_CI_CI
	.p2align	8
	.type	bluestein_single_back_len1540_dim1_dp_op_CI_CI,@function
bluestein_single_back_len1540_dim1_dp_op_CI_CI: ; @bluestein_single_back_len1540_dim1_dp_op_CI_CI
; %bb.0:
	s_load_dwordx4 s[4:7], s[0:1], 0x28
	v_mul_u32_u24_e32 v1, 0x1aa, v0
	v_mov_b32_e32 v179, 0
	v_add_u32_sdwa v174, s2, v1 dst_sel:DWORD dst_unused:UNUSED_PAD src0_sel:DWORD src1_sel:WORD_1
	v_mov_b32_e32 v175, v179
	s_waitcnt lgkmcnt(0)
	v_cmp_gt_u64_e32 vcc, s[4:5], v[174:175]
	s_and_saveexec_b64 s[2:3], vcc
	s_cbranch_execz .LBB0_23
; %bb.1:
	s_load_dwordx2 s[14:15], s[0:1], 0x0
	s_load_dwordx2 s[12:13], s[0:1], 0x38
	s_movk_i32 s2, 0x9a
	v_mul_lo_u16_sdwa v1, v1, s2 dst_sel:DWORD dst_unused:UNUSED_PAD src0_sel:WORD_1 src1_sel:DWORD
	v_sub_u16_e32 v178, v0, v1
	s_movk_i32 s2, 0x8c
	v_cmp_gt_u16_e64 s[4:5], s2, v178
	v_lshlrev_b32_e32 v176, 4, v178
	s_and_saveexec_b64 s[2:3], s[4:5]
	s_cbranch_execz .LBB0_3
; %bb.2:
	s_load_dwordx2 s[8:9], s[0:1], 0x18
	v_mov_b32_e32 v0, s6
	v_mov_b32_e32 v1, s7
	;; [unrolled: 1-line block ×3, first 2 shown]
	s_waitcnt lgkmcnt(0)
	v_lshl_add_u64 v[14:15], s[14:15], 0, v[176:177]
	s_load_dwordx4 s[8:11], s[8:9], 0x0
	v_mov_b32_e32 v90, 0x8c0
	s_movk_i32 s16, 0x5000
	s_waitcnt lgkmcnt(0)
	v_mad_u64_u32 v[2:3], s[6:7], s10, v174, 0
	v_mad_u64_u32 v[4:5], s[6:7], s8, v178, 0
	v_mov_b32_e32 v6, v3
	v_mov_b32_e32 v8, v5
	v_mad_u64_u32 v[6:7], s[6:7], s11, v174, v[6:7]
	v_mov_b32_e32 v3, v6
	v_mad_u64_u32 v[6:7], s[6:7], s9, v178, v[8:9]
	s_movk_i32 s6, 0x1000
	s_nop 0
	v_add_co_u32_e32 v28, vcc, s6, v14
	s_movk_i32 s7, 0x2000
	s_nop 0
	v_addc_co_u32_e32 v29, vcc, 0, v15, vcc
	v_add_co_u32_e32 v44, vcc, s7, v14
	s_movk_i32 s10, 0x3000
	s_nop 0
	v_addc_co_u32_e32 v45, vcc, 0, v15, vcc
	v_add_co_u32_e32 v60, vcc, s10, v14
	v_mov_b32_e32 v5, v6
	v_lshl_add_u64 v[0:1], v[2:3], 4, v[0:1]
	s_movk_i32 s11, 0x4000
	v_addc_co_u32_e32 v61, vcc, 0, v15, vcc
	v_lshl_add_u64 v[12:13], v[4:5], 4, v[0:1]
	v_add_co_u32_e32 v84, vcc, s11, v14
	global_load_dwordx4 v[0:3], v176, s[14:15]
	global_load_dwordx4 v[4:7], v[12:13], off
	v_addc_co_u32_e32 v85, vcc, 0, v15, vcc
	s_mulk_i32 s9, 0x8c0
	v_mad_u64_u32 v[16:17], s[6:7], s8, v90, v[12:13]
	v_add_co_u32_e32 v86, vcc, s16, v14
	v_add_u32_e32 v17, s9, v17
	global_load_dwordx4 v[8:11], v176, s[14:15] offset:2240
	v_addc_co_u32_e32 v87, vcc, 0, v15, vcc
	global_load_dwordx4 v[12:15], v[16:17], off
	v_mad_u64_u32 v[30:31], s[6:7], s8, v90, v[16:17]
	v_add_u32_e32 v31, s9, v31
	v_mad_u64_u32 v[32:33], s[6:7], s8, v90, v[30:31]
	global_load_dwordx4 v[16:19], v[30:31], off
	global_load_dwordx4 v[20:23], v[28:29], off offset:384
	global_load_dwordx4 v[24:27], v[28:29], off offset:2624
	v_add_u32_e32 v33, s9, v33
	global_load_dwordx4 v[28:31], v[32:33], off
	v_mad_u64_u32 v[46:47], s[6:7], s8, v90, v[32:33]
	v_add_u32_e32 v47, s9, v47
	v_mad_u64_u32 v[48:49], s[6:7], s8, v90, v[46:47]
	global_load_dwordx4 v[32:35], v[46:47], off
	global_load_dwordx4 v[36:39], v[44:45], off offset:768
	global_load_dwordx4 v[40:43], v[44:45], off offset:3008
	v_add_u32_e32 v49, s9, v49
	;; [unrolled: 8-line block ×3, first 2 shown]
	global_load_dwordx4 v[60:63], v[64:65], off
	v_mad_u64_u32 v[72:73], s[6:7], s8, v90, v[64:65]
	v_add_u32_e32 v73, s9, v73
	global_load_dwordx4 v[64:67], v[72:73], off
	global_load_dwordx4 v[68:71], v[84:85], off offset:1536
	v_mad_u64_u32 v[88:89], s[6:7], s8, v90, v[72:73]
	v_add_u32_e32 v89, s9, v89
	global_load_dwordx4 v[72:75], v[88:89], off
	global_load_dwordx4 v[76:79], v[84:85], off offset:3776
	global_load_dwordx4 v[80:83], v[86:87], off offset:1920
	v_mad_u64_u32 v[84:85], s[6:7], s8, v90, v[88:89]
	v_add_u32_e32 v85, s9, v85
	global_load_dwordx4 v[84:87], v[84:85], off
	s_waitcnt vmcnt(20)
	v_mul_f64 v[88:89], v[4:5], v[2:3]
	v_fma_f64 v[90:91], v[6:7], v[0:1], -v[88:89]
	v_mul_f64 v[88:89], v[6:7], v[2:3]
	v_fmac_f64_e32 v[88:89], v[4:5], v[0:1]
	ds_write_b128 v176, v[88:91]
	s_waitcnt vmcnt(18)
	v_mul_f64 v[0:1], v[14:15], v[10:11]
	v_mul_f64 v[2:3], v[12:13], v[10:11]
	v_fmac_f64_e32 v[0:1], v[12:13], v[8:9]
	v_fma_f64 v[2:3], v[14:15], v[8:9], -v[2:3]
	ds_write_b128 v176, v[0:3] offset:2240
	s_waitcnt vmcnt(16)
	v_mul_f64 v[0:1], v[18:19], v[22:23]
	v_mul_f64 v[2:3], v[16:17], v[22:23]
	v_fmac_f64_e32 v[0:1], v[16:17], v[20:21]
	v_fma_f64 v[2:3], v[18:19], v[20:21], -v[2:3]
	ds_write_b128 v176, v[0:3] offset:4480
	;; [unrolled: 6-line block ×10, first 2 shown]
.LBB0_3:
	s_or_b64 exec, exec, s[2:3]
	s_load_dwordx2 s[2:3], s[0:1], 0x20
	s_load_dwordx2 s[6:7], s[0:1], 0x8
	s_waitcnt lgkmcnt(0)
	s_barrier
	s_waitcnt lgkmcnt(0)
                                        ; implicit-def: $vgpr0_vgpr1
                                        ; implicit-def: $vgpr4_vgpr5
                                        ; implicit-def: $vgpr8_vgpr9
                                        ; implicit-def: $vgpr12_vgpr13
                                        ; implicit-def: $vgpr16_vgpr17
                                        ; implicit-def: $vgpr20_vgpr21
                                        ; implicit-def: $vgpr24_vgpr25
                                        ; implicit-def: $vgpr28_vgpr29
                                        ; implicit-def: $vgpr32_vgpr33
                                        ; implicit-def: $vgpr36_vgpr37
                                        ; implicit-def: $vgpr40_vgpr41
	s_and_saveexec_b64 s[0:1], s[4:5]
	s_cbranch_execz .LBB0_5
; %bb.4:
	ds_read_b128 v[0:3], v176
	ds_read_b128 v[4:7], v176 offset:2240
	ds_read_b128 v[8:11], v176 offset:4480
	;; [unrolled: 1-line block ×10, first 2 shown]
.LBB0_5:
	s_or_b64 exec, exec, s[0:1]
	s_mov_b32 s18, 0xf8bb580b
	s_waitcnt lgkmcnt(0)
	v_add_f64 v[94:95], v[6:7], -v[42:43]
	s_mov_b32 s8, 0x8764f0ba
	s_mov_b32 s19, 0xbfe14ced
	;; [unrolled: 1-line block ×3, first 2 shown]
	v_add_f64 v[68:69], v[4:5], v[40:41]
	v_add_f64 v[80:81], v[4:5], -v[40:41]
	s_mov_b32 s9, 0x3feaeb8c
	v_mul_f64 v[60:61], v[94:95], s[18:19]
	v_add_f64 v[104:105], v[10:11], -v[38:39]
	s_mov_b32 s10, 0xd9c712b6
	s_mov_b32 s21, 0xbfed1bb4
	v_add_f64 v[70:71], v[6:7], v[42:43]
	v_mul_f64 v[62:63], v[80:81], s[18:19]
	v_fma_f64 v[44:45], s[8:9], v[68:69], v[60:61]
	v_add_f64 v[74:75], v[8:9], v[36:37]
	v_add_f64 v[90:91], v[8:9], -v[36:37]
	s_mov_b32 s11, 0x3fda9628
	v_mul_f64 v[72:73], v[104:105], s[20:21]
	s_mov_b32 s28, 0x43842ef
	v_add_f64 v[44:45], v[0:1], v[44:45]
	v_fma_f64 v[46:47], v[70:71], s[8:9], -v[62:63]
	v_add_f64 v[76:77], v[10:11], v[38:39]
	v_mul_f64 v[78:79], v[90:91], s[20:21]
	v_fma_f64 v[48:49], s[10:11], v[74:75], v[72:73]
	v_add_f64 v[110:111], v[14:15], -v[34:35]
	s_mov_b32 s16, 0x640f44db
	s_mov_b32 s29, 0xbfefac9e
	v_add_f64 v[46:47], v[2:3], v[46:47]
	v_add_f64 v[44:45], v[48:49], v[44:45]
	v_fma_f64 v[48:49], v[76:77], s[10:11], -v[78:79]
	v_add_f64 v[84:85], v[12:13], v[32:33]
	v_add_f64 v[100:101], v[12:13], -v[32:33]
	s_mov_b32 s17, 0xbfc2375f
	v_mul_f64 v[82:83], v[110:111], s[28:29]
	s_mov_b32 s26, 0xbb3a28a1
	v_add_f64 v[46:47], v[48:49], v[46:47]
	v_add_f64 v[86:87], v[14:15], v[34:35]
	v_mul_f64 v[88:89], v[100:101], s[28:29]
	v_fma_f64 v[48:49], s[16:17], v[84:85], v[82:83]
	v_add_f64 v[116:117], v[18:19], -v[30:31]
	s_mov_b32 s22, 0x7f775887
	s_mov_b32 s27, 0xbfe82f19
	v_add_f64 v[44:45], v[48:49], v[44:45]
	v_fma_f64 v[48:49], v[86:87], s[16:17], -v[88:89]
	v_add_f64 v[96:97], v[16:17], v[28:29]
	s_mov_b32 s23, 0xbfe4f49e
	v_mul_f64 v[92:93], v[116:117], s[26:27]
	v_add_f64 v[118:119], v[16:17], -v[28:29]
	s_mov_b32 s30, 0xfd768dbf
	v_add_f64 v[46:47], v[48:49], v[46:47]
	v_fma_f64 v[48:49], s[22:23], v[96:97], v[92:93]
	v_add_f64 v[102:103], v[18:19], v[30:31]
	v_mul_f64 v[98:99], v[118:119], s[26:27]
	s_mov_b32 s24, 0x9bcd5057
	s_mov_b32 s31, 0xbfd207e7
	v_add_f64 v[120:121], v[22:23], -v[26:27]
	v_add_f64 v[44:45], v[48:49], v[44:45]
	v_fma_f64 v[48:49], v[102:103], s[22:23], -v[98:99]
	s_mov_b32 s25, 0xbfeeb42a
	v_add_f64 v[108:109], v[20:21], v[24:25]
	v_mul_f64 v[106:107], v[120:121], s[30:31]
	v_add_f64 v[122:123], v[20:21], -v[24:25]
	v_add_f64 v[46:47], v[48:49], v[46:47]
	v_fma_f64 v[48:49], s[24:25], v[108:109], v[106:107]
	v_add_f64 v[114:115], v[22:23], v[26:27]
	v_mul_f64 v[112:113], v[122:123], s[30:31]
	v_add_f64 v[64:65], v[48:49], v[44:45]
	v_fma_f64 v[44:45], v[114:115], s[24:25], -v[112:113]
	v_add_f64 v[66:67], v[44:45], v[46:47]
	v_mul_lo_u16_e32 v235, 11, v178
	s_barrier
	s_and_saveexec_b64 s[0:1], s[4:5]
	s_cbranch_execz .LBB0_7
; %bb.6:
	v_mul_f64 v[54:55], v[70:71], s[24:25]
	s_mov_b32 s35, 0x3fd207e7
	s_mov_b32 s34, s30
	v_mul_f64 v[52:53], v[76:77], s[8:9]
	v_fma_f64 v[56:57], s[34:35], v[80:81], v[54:55]
	v_mul_f64 v[50:51], v[86:87], s[22:23]
	s_mov_b32 s39, 0x3fe82f19
	s_mov_b32 s38, s26
	v_fma_f64 v[46:47], s[18:19], v[90:91], v[52:53]
	v_add_f64 v[56:57], v[2:3], v[56:57]
	v_mul_f64 v[48:49], v[102:103], s[10:11]
	v_add_f64 v[46:47], v[46:47], v[56:57]
	v_fma_f64 v[56:57], s[38:39], v[100:101], v[50:51]
	v_fma_f64 v[44:45], s[20:21], v[118:119], v[48:49]
	v_add_f64 v[46:47], v[56:57], v[46:47]
	s_mov_b32 s37, 0x3fe14ced
	s_mov_b32 s36, s18
	v_mul_f64 v[56:57], v[94:95], s[30:31]
	v_add_f64 v[44:45], v[44:45], v[46:47]
	v_fma_f64 v[46:47], s[24:25], v[68:69], v[56:57]
	v_mul_f64 v[58:59], v[104:105], s[36:37]
	v_fmac_f64_e32 v[54:55], s[30:31], v[80:81]
	v_add_f64 v[46:47], v[0:1], v[46:47]
	v_fma_f64 v[124:125], s[8:9], v[74:75], v[58:59]
	v_fmac_f64_e32 v[52:53], s[36:37], v[90:91]
	v_add_f64 v[54:55], v[2:3], v[54:55]
	v_add_f64 v[46:47], v[124:125], v[46:47]
	v_mul_f64 v[124:125], v[110:111], s[26:27]
	s_mov_b32 s43, 0x3fed1bb4
	s_mov_b32 s42, s20
	v_add_f64 v[52:53], v[52:53], v[54:55]
	v_fmac_f64_e32 v[50:51], s[26:27], v[100:101]
	v_fma_f64 v[126:127], s[22:23], v[84:85], v[124:125]
	v_add_f64 v[50:51], v[50:51], v[52:53]
	v_fmac_f64_e32 v[48:49], s[42:43], v[118:119]
	v_fma_f64 v[52:53], v[68:69], s[24:25], -v[56:57]
	v_add_f64 v[46:47], v[126:127], v[46:47]
	v_mul_f64 v[126:127], v[116:117], s[42:43]
	v_add_f64 v[48:49], v[48:49], v[50:51]
	v_fma_f64 v[50:51], v[74:75], s[8:9], -v[58:59]
	v_add_f64 v[52:53], v[0:1], v[52:53]
	v_fma_f64 v[128:129], s[10:11], v[96:97], v[126:127]
	s_mov_b32 s41, 0x3fefac9e
	s_mov_b32 s40, s28
	v_mul_f64 v[130:131], v[114:115], s[16:17]
	v_add_f64 v[50:51], v[50:51], v[52:53]
	v_fma_f64 v[52:53], v[84:85], s[22:23], -v[124:125]
	v_add_f64 v[128:129], v[128:129], v[46:47]
	v_fma_f64 v[46:47], s[40:41], v[122:123], v[130:131]
	v_mul_f64 v[132:133], v[120:121], s[28:29]
	v_add_f64 v[52:53], v[52:53], v[50:51]
	v_fmac_f64_e32 v[130:131], s[28:29], v[122:123]
	v_fma_f64 v[54:55], v[96:97], s[10:11], -v[126:127]
	v_add_f64 v[50:51], v[130:131], v[48:49]
	v_fma_f64 v[48:49], v[108:109], s[16:17], -v[132:133]
	v_add_f64 v[52:53], v[54:55], v[52:53]
	v_mul_f64 v[58:59], v[70:71], s[22:23]
	v_add_f64 v[48:49], v[48:49], v[52:53]
	v_mul_f64 v[56:57], v[76:77], s[16:17]
	v_fma_f64 v[52:53], s[38:39], v[80:81], v[58:59]
	v_add_f64 v[52:53], v[2:3], v[52:53]
	v_fma_f64 v[54:55], s[28:29], v[90:91], v[56:57]
	v_mul_f64 v[124:125], v[86:87], s[8:9]
	v_add_f64 v[46:47], v[46:47], v[44:45]
	v_fma_f64 v[44:45], s[16:17], v[108:109], v[132:133]
	v_add_f64 v[52:53], v[54:55], v[52:53]
	v_fma_f64 v[54:55], s[36:37], v[100:101], v[124:125]
	v_mul_f64 v[126:127], v[102:103], s[24:25]
	v_add_f64 v[44:45], v[44:45], v[128:129]
	v_add_f64 v[52:53], v[54:55], v[52:53]
	v_fma_f64 v[54:55], s[34:35], v[118:119], v[126:127]
	v_mul_f64 v[128:129], v[94:95], s[26:27]
	v_add_f64 v[52:53], v[54:55], v[52:53]
	v_fma_f64 v[54:55], s[22:23], v[68:69], v[128:129]
	v_mul_f64 v[130:131], v[104:105], s[40:41]
	v_fmac_f64_e32 v[58:59], s[26:27], v[80:81]
	v_add_f64 v[54:55], v[0:1], v[54:55]
	v_fma_f64 v[132:133], s[16:17], v[74:75], v[130:131]
	v_fmac_f64_e32 v[56:57], s[40:41], v[90:91]
	v_add_f64 v[58:59], v[2:3], v[58:59]
	v_add_f64 v[54:55], v[132:133], v[54:55]
	v_mul_f64 v[132:133], v[110:111], s[18:19]
	v_add_f64 v[56:57], v[56:57], v[58:59]
	v_fmac_f64_e32 v[124:125], s[18:19], v[100:101]
	v_fma_f64 v[134:135], s[8:9], v[84:85], v[132:133]
	v_add_f64 v[56:57], v[124:125], v[56:57]
	v_fma_f64 v[124:125], v[68:69], s[22:23], -v[128:129]
	v_add_f64 v[54:55], v[134:135], v[54:55]
	v_mul_f64 v[134:135], v[116:117], s[30:31]
	v_fma_f64 v[58:59], v[74:75], s[16:17], -v[130:131]
	v_add_f64 v[124:125], v[0:1], v[124:125]
	v_fma_f64 v[136:137], s[24:25], v[96:97], v[134:135]
	v_mul_f64 v[138:139], v[114:115], s[10:11]
	v_fmac_f64_e32 v[126:127], s[30:31], v[118:119]
	v_add_f64 v[58:59], v[58:59], v[124:125]
	v_fma_f64 v[124:125], v[84:85], s[8:9], -v[132:133]
	v_add_f64 v[136:137], v[136:137], v[54:55]
	v_fma_f64 v[54:55], s[20:21], v[122:123], v[138:139]
	v_mul_f64 v[140:141], v[120:121], s[42:43]
	v_add_f64 v[56:57], v[126:127], v[56:57]
	v_add_f64 v[58:59], v[124:125], v[58:59]
	v_fma_f64 v[124:125], v[96:97], s[24:25], -v[134:135]
	v_fmac_f64_e32 v[138:139], s[42:43], v[122:123]
	v_add_f64 v[124:125], v[124:125], v[58:59]
	v_add_f64 v[58:59], v[138:139], v[56:57]
	v_fma_f64 v[56:57], v[108:109], s[10:11], -v[140:141]
	v_mul_f64 v[128:129], v[70:71], s[16:17]
	v_add_f64 v[56:57], v[56:57], v[124:125]
	v_fma_f64 v[124:125], s[40:41], v[80:81], v[128:129]
	v_mul_f64 v[130:131], v[76:77], s[24:25]
	v_add_f64 v[124:125], v[2:3], v[124:125]
	v_fma_f64 v[126:127], s[30:31], v[90:91], v[130:131]
	;; [unrolled: 3-line block ×3, first 2 shown]
	v_add_f64 v[124:125], v[126:127], v[124:125]
	v_fma_f64 v[126:127], s[20:21], v[100:101], v[132:133]
	v_mul_f64 v[134:135], v[102:103], s[8:9]
	v_add_f64 v[52:53], v[52:53], v[136:137]
	v_add_f64 v[124:125], v[126:127], v[124:125]
	v_fma_f64 v[126:127], s[36:37], v[118:119], v[134:135]
	v_mul_f64 v[136:137], v[94:95], s[28:29]
	v_add_f64 v[124:125], v[126:127], v[124:125]
	v_fma_f64 v[126:127], s[16:17], v[68:69], v[136:137]
	v_mul_f64 v[138:139], v[104:105], s[34:35]
	v_fmac_f64_e32 v[128:129], s[28:29], v[80:81]
	v_add_f64 v[126:127], v[0:1], v[126:127]
	v_fma_f64 v[140:141], s[24:25], v[74:75], v[138:139]
	v_fmac_f64_e32 v[130:131], s[34:35], v[90:91]
	v_add_f64 v[128:129], v[2:3], v[128:129]
	v_add_f64 v[126:127], v[140:141], v[126:127]
	v_mul_f64 v[140:141], v[110:111], s[42:43]
	v_add_f64 v[128:129], v[130:131], v[128:129]
	v_fmac_f64_e32 v[132:133], s[42:43], v[100:101]
	v_fma_f64 v[142:143], s[10:11], v[84:85], v[140:141]
	v_add_f64 v[128:129], v[132:133], v[128:129]
	v_fma_f64 v[132:133], v[68:69], s[16:17], -v[136:137]
	v_add_f64 v[126:127], v[142:143], v[126:127]
	v_mul_f64 v[142:143], v[116:117], s[18:19]
	v_fma_f64 v[130:131], v[74:75], s[24:25], -v[138:139]
	v_add_f64 v[132:133], v[0:1], v[132:133]
	v_fma_f64 v[144:145], s[8:9], v[96:97], v[142:143]
	v_mul_f64 v[146:147], v[114:115], s[22:23]
	v_fmac_f64_e32 v[134:135], s[18:19], v[118:119]
	v_add_f64 v[130:131], v[130:131], v[132:133]
	v_fma_f64 v[132:133], v[84:85], s[10:11], -v[140:141]
	v_add_f64 v[144:145], v[144:145], v[126:127]
	v_fma_f64 v[126:127], s[38:39], v[122:123], v[146:147]
	v_mul_f64 v[148:149], v[120:121], s[26:27]
	v_add_f64 v[128:129], v[134:135], v[128:129]
	v_add_f64 v[130:131], v[132:133], v[130:131]
	v_fma_f64 v[132:133], v[96:97], s[8:9], -v[142:143]
	v_fmac_f64_e32 v[146:147], s[26:27], v[122:123]
	v_add_f64 v[132:133], v[132:133], v[130:131]
	v_add_f64 v[130:131], v[146:147], v[128:129]
	v_fma_f64 v[128:129], v[108:109], s[22:23], -v[148:149]
	v_mul_f64 v[136:137], v[70:71], s[10:11]
	v_add_f64 v[128:129], v[128:129], v[132:133]
	v_fma_f64 v[132:133], s[42:43], v[80:81], v[136:137]
	v_mul_f64 v[138:139], v[76:77], s[22:23]
	v_add_f64 v[132:133], v[2:3], v[132:133]
	v_fma_f64 v[134:135], s[38:39], v[90:91], v[138:139]
	;; [unrolled: 3-line block ×5, first 2 shown]
	v_fma_f64 v[94:95], v[68:69], s[10:11], -v[94:95]
	v_mul_f64 v[68:69], v[68:69], s[8:9]
	v_mul_f64 v[70:71], v[70:71], s[8:9]
	v_fmac_f64_e32 v[136:137], s[20:21], v[80:81]
	v_add_f64 v[62:63], v[62:63], v[70:71]
	v_add_f64 v[60:61], v[68:69], -v[60:61]
	v_add_f64 v[126:127], v[126:127], v[124:125]
	v_fma_f64 v[124:125], s[22:23], v[108:109], v[148:149]
	v_mul_f64 v[104:105], v[104:105], s[26:27]
	v_add_f64 v[134:135], v[0:1], v[134:135]
	v_add_f64 v[80:81], v[2:3], v[136:137]
	v_add_f64 v[94:95], v[0:1], v[94:95]
	v_add_f64 v[62:63], v[2:3], v[62:63]
	v_add_f64 v[60:61], v[0:1], v[60:61]
	v_add_f64 v[2:3], v[2:3], v[6:7]
	v_add_f64 v[0:1], v[0:1], v[4:5]
	v_add_f64 v[124:125], v[124:125], v[144:145]
	v_fma_f64 v[144:145], s[22:23], v[74:75], v[104:105]
	v_mul_f64 v[110:111], v[110:111], s[34:35]
	v_fmac_f64_e32 v[138:139], s[26:27], v[90:91]
	v_add_f64 v[2:3], v[2:3], v[10:11]
	v_add_f64 v[0:1], v[0:1], v[8:9]
	;; [unrolled: 1-line block ×3, first 2 shown]
	v_fma_f64 v[144:145], s[24:25], v[84:85], v[110:111]
	v_mul_f64 v[116:117], v[116:117], s[40:41]
	v_fmac_f64_e32 v[140:141], s[34:35], v[100:101]
	v_add_f64 v[80:81], v[138:139], v[80:81]
	v_fma_f64 v[90:91], v[74:75], s[22:23], -v[104:105]
	v_add_f64 v[2:3], v[2:3], v[14:15]
	v_add_f64 v[0:1], v[0:1], v[12:13]
	;; [unrolled: 1-line block ×3, first 2 shown]
	v_fma_f64 v[144:145], s[16:17], v[96:97], v[116:117]
	v_mul_f64 v[146:147], v[114:115], s[8:9]
	v_fmac_f64_e32 v[142:143], s[40:41], v[118:119]
	v_add_f64 v[80:81], v[140:141], v[80:81]
	v_add_f64 v[90:91], v[90:91], v[94:95]
	v_fma_f64 v[94:95], v[84:85], s[24:25], -v[110:111]
	v_add_f64 v[2:3], v[2:3], v[18:19]
	v_add_f64 v[0:1], v[0:1], v[16:17]
	;; [unrolled: 1-line block ×3, first 2 shown]
	v_fma_f64 v[134:135], s[18:19], v[122:123], v[146:147]
	v_mul_f64 v[120:121], v[120:121], s[36:37]
	v_fmac_f64_e32 v[146:147], s[36:37], v[122:123]
	v_add_f64 v[80:81], v[142:143], v[80:81]
	v_add_f64 v[90:91], v[94:95], v[90:91]
	v_fma_f64 v[94:95], v[96:97], s[16:17], -v[116:117]
	v_add_f64 v[2:3], v[2:3], v[22:23]
	v_add_f64 v[0:1], v[0:1], v[20:21]
	;; [unrolled: 1-line block ×4, first 2 shown]
	v_fma_f64 v[80:81], v[108:109], s[8:9], -v[120:121]
	v_mul_f64 v[74:75], v[74:75], s[10:11]
	v_mul_f64 v[76:77], v[76:77], s[10:11]
	v_add_f64 v[2:3], v[2:3], v[26:27]
	v_add_f64 v[0:1], v[0:1], v[24:25]
	;; [unrolled: 1-line block ×3, first 2 shown]
	v_mul_f64 v[80:81], v[84:85], s[16:17]
	v_mul_f64 v[84:85], v[86:87], s[16:17]
	v_add_f64 v[76:77], v[78:79], v[76:77]
	v_add_f64 v[72:73], v[74:75], -v[72:73]
	v_add_f64 v[2:3], v[2:3], v[30:31]
	v_add_f64 v[0:1], v[0:1], v[28:29]
	v_mul_f64 v[86:87], v[96:97], s[22:23]
	v_mul_f64 v[90:91], v[102:103], s[22:23]
	v_add_f64 v[84:85], v[88:89], v[84:85]
	v_add_f64 v[62:63], v[76:77], v[62:63]
	v_add_f64 v[78:79], v[80:81], -v[82:83]
	v_add_f64 v[60:61], v[72:73], v[60:61]
	v_add_f64 v[2:3], v[2:3], v[34:35]
	;; [unrolled: 1-line block ×3, first 2 shown]
	v_mul_f64 v[94:95], v[108:109], s[24:25]
	v_mul_f64 v[96:97], v[114:115], s[24:25]
	v_add_f64 v[90:91], v[98:99], v[90:91]
	v_add_f64 v[62:63], v[84:85], v[62:63]
	v_add_f64 v[76:77], v[86:87], -v[92:93]
	v_add_f64 v[60:61], v[78:79], v[60:61]
	v_add_f64 v[2:3], v[2:3], v[38:39]
	;; [unrolled: 1-line block ×4, first 2 shown]
	v_fma_f64 v[132:133], s[8:9], v[108:109], v[120:121]
	v_add_f64 v[96:97], v[112:113], v[96:97]
	v_add_f64 v[62:63], v[90:91], v[62:63]
	v_add_f64 v[70:71], v[94:95], -v[106:107]
	v_add_f64 v[60:61], v[76:77], v[60:61]
	v_add_f64 v[2:3], v[2:3], v[42:43]
	;; [unrolled: 1-line block ×3, first 2 shown]
	v_lshlrev_b32_e32 v4, 4, v235
	v_add_f64 v[132:133], v[132:133], v[144:145]
	v_add_f64 v[62:63], v[96:97], v[62:63]
	;; [unrolled: 1-line block ×3, first 2 shown]
	ds_write_b128 v4, v[0:3]
	ds_write_b128 v4, v[60:63] offset:16
	ds_write_b128 v4, v[116:119] offset:32
	;; [unrolled: 1-line block ×10, first 2 shown]
.LBB0_7:
	s_or_b64 exec, exec, s[0:1]
	s_mov_b64 s[0:1], 0x134
	v_lshl_add_u64 v[0:1], v[178:179], 0, s[0:1]
	s_mov_b64 s[0:1], 0x1ce
	v_lshl_add_u64 v[2:3], v[178:179], 0, s[0:1]
	s_mov_b64 s[0:1], 0x268
	v_lshl_add_u64 v[4:5], v[178:179], 0, s[0:1]
	s_movk_i32 s0, 0x75
	v_mul_lo_u16_sdwa v1, v178, s0 dst_sel:DWORD dst_unused:UNUSED_PAD src0_sel:BYTE_0 src1_sel:DWORD
	s_mov_b32 s0, 0xba2f
	v_mul_u32_u24_sdwa v5, v0, s0 dst_sel:DWORD dst_unused:UNUSED_PAD src0_sel:WORD_0 src1_sel:DWORD
	v_lshrrev_b32_e32 v78, 19, v5
	v_mul_lo_u16_e32 v5, 11, v78
	v_sub_u16_e32 v79, v0, v5
	v_mul_u32_u24_sdwa v5, v2, s0 dst_sel:DWORD dst_unused:UNUSED_PAD src0_sel:WORD_0 src1_sel:DWORD
	v_lshrrev_b32_e32 v88, 19, v5
	v_mul_lo_u16_e32 v5, 11, v88
	v_lshlrev_b32_e32 v0, 4, v79
	v_sub_u16_e32 v89, v2, v5
	s_load_dwordx4 s[8:11], s[2:3], 0x0
	s_waitcnt lgkmcnt(0)
	s_barrier
	v_lshlrev_b32_e32 v2, 4, v89
	global_load_dwordx4 v[28:31], v0, s[6:7]
	global_load_dwordx4 v[24:27], v2, s[6:7]
	v_mul_u32_u24_sdwa v0, v4, s0 dst_sel:DWORD dst_unused:UNUSED_PAD src0_sel:WORD_0 src1_sel:DWORD
	v_lshrrev_b32_e32 v90, 19, v0
	v_sub_u16_sdwa v3, v178, v1 dst_sel:DWORD dst_unused:UNUSED_PAD src0_sel:DWORD src1_sel:BYTE_1
	v_mul_lo_u16_e32 v0, 11, v90
	v_lshrrev_b16_e32 v3, 1, v3
	v_sub_u16_e32 v91, v4, v0
	v_and_b32_e32 v3, 0x7f, v3
	v_lshlrev_b32_e32 v0, 4, v91
	global_load_dwordx4 v[32:35], v0, s[6:7]
	v_add_u16_sdwa v0, v3, v1 dst_sel:DWORD dst_unused:UNUSED_PAD src0_sel:DWORD src1_sel:BYTE_1
	v_lshrrev_b16_e32 v1, 3, v0
	v_mul_lo_u16_e32 v0, 11, v1
	v_sub_u16_e32 v0, v178, v0
	v_add_u16_e32 v126, 0x9a, v178
	v_and_b32_e32 v92, 0xff, v0
	v_mul_u32_u24_e32 v0, 0xba2f, v126
	v_lshrrev_b32_e32 v93, 19, v0
	v_mul_lo_u16_e32 v3, 11, v93
	v_lshlrev_b32_e32 v2, 4, v92
	v_sub_u16_e32 v94, v126, v3
	global_load_dwordx4 v[40:43], v2, s[6:7]
	v_lshlrev_b32_e32 v2, 4, v94
	global_load_dwordx4 v[36:39], v2, s[6:7]
	v_mov_b32_e32 v2, 4
	v_lshlrev_b32_sdwa v179, v2, v178 dst_sel:DWORD dst_unused:UNUSED_PAD src0_sel:DWORD src1_sel:WORD_0
	ds_read_b128 v[2:5], v179
	ds_read_b128 v[6:9], v179 offset:2464
	ds_read_b128 v[10:13], v179 offset:14784
	;; [unrolled: 1-line block ×9, first 2 shown]
	v_mul_u32_u24_e32 v1, 22, v1
	v_add_lshl_u32 v239, v1, v92, 4
	v_mad_legacy_u16 v1, v93, 22, v94
	v_lshlrev_b32_e32 v246, 4, v1
	v_mad_legacy_u16 v1, v78, 22, v79
	v_lshlrev_b32_e32 v247, 4, v1
	;; [unrolled: 2-line block ×4, first 2 shown]
	s_waitcnt lgkmcnt(0)
	s_barrier
	s_movk_i32 s0, 0x42
	v_cmp_gt_u16_e64 s[2:3], s0, v178
                                        ; implicit-def: $vgpr112_vgpr113
                                        ; implicit-def: $vgpr116_vgpr117
                                        ; implicit-def: $vgpr120_vgpr121
	s_waitcnt vmcnt(4)
	v_mul_f64 v[68:69], v[14:15], v[30:31]
	v_mul_f64 v[22:23], v[16:17], v[30:31]
	s_waitcnt vmcnt(3)
	v_mul_f64 v[70:71], v[50:51], v[26:27]
	v_mul_f64 v[74:75], v[48:49], v[26:27]
	v_fmac_f64_e32 v[68:69], v[16:17], v[28:29]
	v_fma_f64 v[14:15], v[14:15], v[28:29], -v[22:23]
	v_fma_f64 v[22:23], v[48:49], v[24:25], -v[70:71]
	v_fmac_f64_e32 v[74:75], v[50:51], v[24:25]
	v_add_f64 v[16:17], v[20:21], -v[68:69]
	v_add_f64 v[14:15], v[18:19], -v[14:15]
	s_waitcnt vmcnt(2)
	v_mul_f64 v[76:77], v[60:61], v[34:35]
	v_mul_f64 v[72:73], v[62:63], v[34:35]
	v_fmac_f64_e32 v[76:77], v[62:63], v[32:33]
	v_fma_f64 v[60:61], v[60:61], v[32:33], -v[72:73]
	v_add_f64 v[72:73], v[44:45], -v[22:23]
	v_add_f64 v[74:75], v[46:47], -v[74:75]
	;; [unrolled: 1-line block ×4, first 2 shown]
	v_fma_f64 v[18:19], v[18:19], 2.0, -v[14:15]
	v_fma_f64 v[20:21], v[20:21], 2.0, -v[16:17]
	;; [unrolled: 1-line block ×4, first 2 shown]
	s_waitcnt vmcnt(1)
	v_mul_f64 v[48:49], v[54:55], v[42:43]
	v_mul_f64 v[50:51], v[52:53], v[42:43]
	s_waitcnt vmcnt(0)
	v_mul_f64 v[62:63], v[12:13], v[38:39]
	v_mul_f64 v[68:69], v[10:11], v[38:39]
	v_fma_f64 v[48:49], v[52:53], v[40:41], -v[48:49]
	v_fmac_f64_e32 v[50:51], v[54:55], v[40:41]
	v_fma_f64 v[52:53], v[10:11], v[36:37], -v[62:63]
	v_fmac_f64_e32 v[68:69], v[12:13], v[36:37]
	v_add_f64 v[10:11], v[2:3], -v[48:49]
	v_add_f64 v[12:13], v[4:5], -v[50:51]
	;; [unrolled: 1-line block ×4, first 2 shown]
	v_fma_f64 v[2:3], v[2:3], 2.0, -v[10:11]
	v_fma_f64 v[4:5], v[4:5], 2.0, -v[12:13]
	;; [unrolled: 1-line block ×6, first 2 shown]
	ds_write_b128 v239, v[2:5]
	ds_write_b128 v239, v[10:13] offset:176
	ds_write_b128 v246, v[6:9]
	ds_write_b128 v246, v[48:51] offset:176
	;; [unrolled: 2-line block ×5, first 2 shown]
	s_waitcnt lgkmcnt(0)
	s_barrier
	ds_read_b128 v[76:79], v179
	ds_read_b128 v[108:111], v179 offset:3520
	ds_read_b128 v[104:107], v179 offset:7040
	;; [unrolled: 1-line block ×6, first 2 shown]
	s_and_saveexec_b64 s[0:1], s[2:3]
	s_cbranch_execz .LBB0_9
; %bb.8:
	ds_read_b128 v[72:75], v179 offset:2464
	ds_read_b128 v[80:83], v179 offset:5984
	;; [unrolled: 1-line block ×7, first 2 shown]
.LBB0_9:
	s_or_b64 exec, exec, s[0:1]
	v_lshrrev_b32_e32 v175, 20, v0
	v_mul_lo_u16_e32 v0, 22, v175
	v_sub_u16_e32 v238, v126, v0
	v_lshrrev_b16_e32 v0, 1, v178
	v_and_b32_e32 v0, 0x7f, v0
	v_mul_lo_u16_e32 v0, 0xbb, v0
	v_lshrrev_b16_e32 v0, 11, v0
	v_mul_lo_u16_e32 v124, 0x60, v238
	v_mov_b32_e32 v125, 0
	v_mul_lo_u16_e32 v1, 22, v0
	v_lshl_add_u64 v[44:45], s[6:7], 0, v[124:125]
	v_sub_u16_e32 v1, v178, v1
	global_load_dwordx4 v[6:9], v[44:45], off offset:176
	global_load_dwordx4 v[2:5], v[44:45], off offset:192
	;; [unrolled: 1-line block ×6, first 2 shown]
	s_movk_i32 s0, 0x60
	v_mov_b64_e32 v[44:45], s[6:7]
	v_and_b32_e32 v1, 0xff, v1
	v_mad_u64_u32 v[44:45], s[0:1], v1, s0, v[44:45]
	global_load_dwordx4 v[68:71], v[44:45], off offset:176
	global_load_dwordx4 v[60:63], v[44:45], off offset:192
	;; [unrolled: 1-line block ×5, first 2 shown]
	s_nop 0
	global_load_dwordx4 v[44:47], v[44:45], off offset:256
	s_mov_b32 s16, 0x37e14327
	s_mov_b32 s0, 0x36b3c0b5
	;; [unrolled: 1-line block ×20, first 2 shown]
	v_mul_u32_u24_e32 v0, 0x9a, v0
	v_add_lshl_u32 v234, v0, v1, 4
	s_waitcnt lgkmcnt(0)
	s_barrier
	s_waitcnt vmcnt(11)
	v_mul_f64 v[136:137], v[80:81], v[8:9]
	s_waitcnt vmcnt(10)
	v_mul_f64 v[130:131], v[86:87], v[4:5]
	;; [unrolled: 2-line block ×3, first 2 shown]
	v_mul_f64 v[140:141], v[64:65], v[252:253]
	s_waitcnt vmcnt(8)
	v_mul_f64 v[134:135], v[114:115], v[242:243]
	s_waitcnt vmcnt(7)
	v_mul_f64 v[144:145], v[118:119], v[12:13]
	v_mul_f64 v[128:129], v[82:83], v[8:9]
	v_mul_f64 v[138:139], v[84:85], v[4:5]
	v_mul_f64 v[142:143], v[112:113], v[242:243]
	v_mul_f64 v[146:147], v[116:117], v[12:13]
	s_waitcnt vmcnt(6)
	v_mul_f64 v[148:149], v[122:123], v[22:23]
	v_mul_f64 v[150:151], v[120:121], v[22:23]
	v_fmac_f64_e32 v[136:137], v[82:83], v[6:7]
	v_fma_f64 v[82:83], v[84:85], v[2:3], -v[130:131]
	v_fma_f64 v[64:65], v[64:65], v[250:251], -v[132:133]
	v_fmac_f64_e32 v[140:141], v[66:67], v[250:251]
	v_fma_f64 v[66:67], v[112:113], v[240:241], -v[134:135]
	v_fma_f64 v[84:85], v[116:117], v[10:11], -v[144:145]
	s_waitcnt vmcnt(5)
	v_mul_f64 v[112:113], v[110:111], v[70:71]
	s_waitcnt vmcnt(4)
	v_mul_f64 v[116:117], v[106:107], v[62:63]
	;; [unrolled: 2-line block ×4, first 2 shown]
	v_fma_f64 v[80:81], v[80:81], v[6:7], -v[128:129]
	v_fmac_f64_e32 v[138:139], v[86:87], v[2:3]
	v_fmac_f64_e32 v[142:143], v[114:115], v[240:241]
	v_fmac_f64_e32 v[146:147], v[118:119], v[10:11]
	v_fma_f64 v[86:87], v[120:121], v[20:21], -v[148:149]
	v_fmac_f64_e32 v[150:151], v[122:123], v[20:21]
	v_mul_f64 v[114:115], v[108:109], v[70:71]
	v_mul_f64 v[118:119], v[104:105], v[62:63]
	;; [unrolled: 1-line block ×7, first 2 shown]
	v_fma_f64 v[108:109], v[108:109], v[68:69], -v[112:113]
	v_fma_f64 v[104:105], v[104:105], v[60:61], -v[116:117]
	;; [unrolled: 1-line block ×4, first 2 shown]
	v_mul_f64 v[130:131], v[96:97], v[54:55]
	v_fmac_f64_e32 v[114:115], v[110:111], v[68:69]
	v_fmac_f64_e32 v[118:119], v[106:107], v[60:61]
	v_fma_f64 v[100:101], v[100:101], v[56:57], -v[120:121]
	v_fmac_f64_e32 v[122:123], v[102:103], v[56:57]
	v_fma_f64 v[96:97], v[96:97], v[52:53], -v[128:129]
	v_fmac_f64_e32 v[134:135], v[94:95], v[48:49]
	v_fmac_f64_e32 v[148:149], v[90:91], v[44:45]
	v_add_f64 v[90:91], v[108:109], v[88:89]
	v_add_f64 v[102:103], v[104:105], v[92:93]
	v_fmac_f64_e32 v[130:131], v[98:99], v[52:53]
	v_add_f64 v[94:95], v[114:115], v[148:149]
	v_add_f64 v[88:89], v[108:109], -v[88:89]
	v_add_f64 v[106:107], v[118:119], v[134:135]
	v_add_f64 v[108:109], v[100:101], v[96:97]
	v_add_f64 v[112:113], v[102:103], v[90:91]
	v_add_f64 v[98:99], v[114:115], -v[148:149]
	v_add_f64 v[92:93], v[104:105], -v[92:93]
	;; [unrolled: 1-line block ×3, first 2 shown]
	v_add_f64 v[110:111], v[122:123], v[130:131]
	v_add_f64 v[96:97], v[96:97], -v[100:101]
	v_add_f64 v[100:101], v[130:131], -v[122:123]
	v_add_f64 v[114:115], v[106:107], v[94:95]
	v_add_f64 v[116:117], v[102:103], -v[90:91]
	v_add_f64 v[90:91], v[90:91], -v[108:109]
	;; [unrolled: 1-line block ×3, first 2 shown]
	v_add_f64 v[108:109], v[108:109], v[112:113]
	v_add_f64 v[118:119], v[106:107], -v[94:95]
	v_add_f64 v[94:95], v[94:95], -v[110:111]
	;; [unrolled: 1-line block ×3, first 2 shown]
	v_add_f64 v[102:103], v[96:97], v[92:93]
	v_add_f64 v[122:123], v[100:101], v[104:105]
	v_add_f64 v[130:131], v[100:101], -v[104:105]
	v_add_f64 v[132:133], v[98:99], -v[100:101]
	v_add_f64 v[110:111], v[110:111], v[114:115]
	v_add_f64 v[100:101], v[76:77], v[108:109]
	v_add_f64 v[128:129], v[96:97], -v[92:93]
	v_add_f64 v[96:97], v[88:89], -v[96:97]
	;; [unrolled: 1-line block ×4, first 2 shown]
	v_add_f64 v[88:89], v[102:103], v[88:89]
	v_add_f64 v[98:99], v[122:123], v[98:99]
	;; [unrolled: 1-line block ×3, first 2 shown]
	v_mov_b64_e32 v[122:123], v[100:101]
	v_mul_f64 v[76:77], v[90:91], s[16:17]
	v_mul_f64 v[78:79], v[94:95], s[16:17]
	;; [unrolled: 1-line block ×6, first 2 shown]
	v_fmac_f64_e32 v[122:123], s[22:23], v[108:109]
	v_mov_b64_e32 v[108:109], v[102:103]
	v_mul_f64 v[112:113], v[92:93], s[18:19]
	v_fmac_f64_e32 v[108:109], s[22:23], v[110:111]
	v_fma_f64 v[90:91], v[116:117], s[24:25], -v[90:91]
	v_fma_f64 v[94:95], v[118:119], s[24:25], -v[94:95]
	;; [unrolled: 1-line block ×4, first 2 shown]
	v_fmac_f64_e32 v[78:79], s[0:1], v[106:107]
	v_fma_f64 v[92:93], v[92:93], s[18:19], -v[134:135]
	v_fmac_f64_e32 v[134:135], s[28:29], v[96:97]
	v_fma_f64 v[118:119], v[104:105], s[18:19], -v[144:145]
	v_mul_f64 v[114:115], v[104:105], s[18:19]
	v_fmac_f64_e32 v[76:77], s[0:1], v[120:121]
	v_fmac_f64_e32 v[144:145], s[28:29], v[132:133]
	v_add_f64 v[78:79], v[78:79], v[108:109]
	v_add_f64 v[90:91], v[90:91], v[122:123]
	v_fmac_f64_e32 v[134:135], s[30:31], v[88:89]
	v_fmac_f64_e32 v[118:119], s[30:31], v[98:99]
	v_fma_f64 v[96:97], v[96:97], s[34:35], -v[112:113]
	v_fma_f64 v[128:129], v[132:133], s[34:35], -v[114:115]
	v_add_f64 v[76:77], v[76:77], v[122:123]
	v_add_f64 v[94:95], v[94:95], v[108:109]
	v_fmac_f64_e32 v[144:145], s[30:31], v[98:99]
	v_fmac_f64_e32 v[92:93], s[30:31], v[88:89]
	v_add_f64 v[106:107], v[78:79], -v[134:135]
	v_add_f64 v[112:113], v[90:91], -v[118:119]
	v_add_f64 v[120:121], v[118:119], v[90:91]
	v_add_f64 v[134:135], v[134:135], v[78:79]
	;; [unrolled: 1-line block ×6, first 2 shown]
	v_fmac_f64_e32 v[96:97], s[30:31], v[88:89]
	v_fmac_f64_e32 v[128:129], s[30:31], v[98:99]
	v_add_f64 v[104:105], v[144:145], v[76:77]
	v_add_f64 v[114:115], v[92:93], v[94:95]
	v_add_f64 v[122:123], v[94:95], -v[92:93]
	v_add_f64 v[132:133], v[76:77], -v[144:145]
	v_add_f64 v[76:77], v[80:81], v[86:87]
	v_add_f64 v[80:81], v[80:81], -v[86:87]
	v_add_f64 v[88:89], v[82:83], v[84:85]
	v_add_f64 v[82:83], v[82:83], -v[84:85]
	v_add_f64 v[92:93], v[64:65], v[66:67]
	v_add_f64 v[94:95], v[140:141], v[142:143]
	v_add_f64 v[64:65], v[66:67], -v[64:65]
	v_add_f64 v[98:99], v[90:91], v[78:79]
	v_add_f64 v[108:109], v[128:129], v[130:131]
	v_add_f64 v[110:111], v[116:117], -v[96:97]
	v_add_f64 v[128:129], v[130:131], -v[128:129]
	v_add_f64 v[130:131], v[96:97], v[116:117]
	v_add_f64 v[86:87], v[136:137], -v[150:151]
	v_add_f64 v[84:85], v[138:139], -v[146:147]
	v_add_f64 v[66:67], v[142:143], -v[140:141]
	v_add_f64 v[96:97], v[88:89], v[76:77]
	v_add_f64 v[118:119], v[90:91], -v[78:79]
	;; [unrolled: 4-line block ×3, first 2 shown]
	v_add_f64 v[82:83], v[82:83], -v[80:81]
	v_add_f64 v[94:95], v[94:95], v[98:99]
	v_add_f64 v[116:117], v[88:89], -v[76:77]
	v_add_f64 v[76:77], v[76:77], -v[92:93]
	;; [unrolled: 1-line block ×3, first 2 shown]
	v_add_f64 v[138:139], v[66:67], v[84:85]
	v_add_f64 v[142:143], v[66:67], -v[84:85]
	v_add_f64 v[144:145], v[80:81], -v[64:65]
	;; [unrolled: 1-line block ×4, first 2 shown]
	v_add_f64 v[92:93], v[92:93], v[96:97]
	v_add_f64 v[136:137], v[136:137], v[80:81]
	;; [unrolled: 1-line block ×3, first 2 shown]
	v_mul_f64 v[78:79], v[78:79], s[16:17]
	v_mul_f64 v[80:81], v[90:91], s[0:1]
	;; [unrolled: 1-line block ×4, first 2 shown]
	v_add_f64 v[86:87], v[138:139], v[86:87]
	v_add_f64 v[64:65], v[72:73], v[92:93]
	v_mul_f64 v[74:75], v[76:77], s[16:17]
	v_mul_f64 v[76:77], v[88:89], s[0:1]
	;; [unrolled: 1-line block ×4, first 2 shown]
	v_fma_f64 v[94:95], s[22:23], v[94:95], v[66:67]
	v_fma_f64 v[142:143], v[118:119], s[24:25], -v[80:81]
	v_fma_f64 v[118:119], v[118:119], s[26:27], -v[78:79]
	v_fmac_f64_e32 v[78:79], s[0:1], v[90:91]
	v_fma_f64 v[90:91], v[82:83], s[18:19], -v[96:97]
	v_fma_f64 v[82:83], v[144:145], s[34:35], -v[98:99]
	v_accvgpr_write_b32 a13, v5
	v_fma_f64 v[92:93], s[22:23], v[92:93], v[64:65]
	v_fma_f64 v[140:141], v[116:117], s[24:25], -v[76:77]
	v_fma_f64 v[116:117], v[116:117], s[26:27], -v[74:75]
	v_fma_f64 v[80:81], v[146:147], s[34:35], -v[138:139]
	v_add_f64 v[98:99], v[118:119], v[94:95]
	v_fmac_f64_e32 v[82:83], s[30:31], v[136:137]
	v_accvgpr_write_b32 a12, v4
	v_accvgpr_write_b32 a11, v3
	;; [unrolled: 1-line block ×3, first 2 shown]
	v_fma_f64 v[88:89], s[0:1], v[88:89], v[74:75]
	v_fma_f64 v[74:75], s[28:29], v[144:145], v[96:97]
	v_add_f64 v[96:97], v[116:117], v[92:93]
	v_fmac_f64_e32 v[80:81], s[30:31], v[86:87]
	v_add_f64 v[4:5], v[82:83], v[98:99]
	v_fma_f64 v[84:85], v[84:85], s[18:19], -v[72:73]
	v_fmac_f64_e32 v[72:73], s[28:29], v[146:147]
	v_add_f64 v[78:79], v[78:79], v[94:95]
	v_fmac_f64_e32 v[74:75], s[30:31], v[136:137]
	v_add_f64 v[2:3], v[96:97], -v[80:81]
	v_accvgpr_write_b32 a35, v5
	v_add_f64 v[76:77], v[88:89], v[92:93]
	v_fmac_f64_e32 v[72:73], s[30:31], v[86:87]
	v_accvgpr_write_b32 a34, v4
	v_accvgpr_write_b32 a33, v3
	v_accvgpr_write_b32 a32, v2
	v_add_f64 v[4:5], v[74:75], v[78:79]
	v_accvgpr_write_b32 a17, v9
	v_accvgpr_write_b32 a21, v13
	v_add_f64 v[88:89], v[140:141], v[92:93]
	v_add_f64 v[138:139], v[142:143], v[94:95]
	v_fmac_f64_e32 v[90:91], s[30:31], v[136:137]
	v_fmac_f64_e32 v[84:85], s[30:31], v[86:87]
	v_add_f64 v[2:3], v[76:77], -v[72:73]
	v_accvgpr_write_b32 a39, v5
	v_accvgpr_write_b32 a16, v8
	;; [unrolled: 1-line block ×7, first 2 shown]
	v_add_f64 v[116:117], v[88:89], -v[84:85]
	v_add_f64 v[118:119], v[90:91], v[138:139]
	v_add_f64 v[92:93], v[84:85], v[88:89]
	v_add_f64 v[94:95], v[138:139], -v[90:91]
	v_accvgpr_write_b32 a38, v4
	v_accvgpr_write_b32 a37, v3
	;; [unrolled: 1-line block ×3, first 2 shown]
	ds_write_b128 v234, v[100:103]
	ds_write_b128 v234, v[104:107] offset:352
	ds_write_b128 v234, v[108:111] offset:704
	ds_write_b128 v234, v[112:115] offset:1056
	ds_write_b128 v234, v[120:123] offset:1408
	ds_write_b128 v234, v[128:131] offset:1760
	ds_write_b128 v234, v[132:135] offset:2112
	s_and_saveexec_b64 s[0:1], s[2:3]
	s_cbranch_execz .LBB0_11
; %bb.10:
	v_mul_u32_u24_e32 v0, 0xba2f, v126
	v_lshrrev_b32_e32 v0, 20, v0
	s_movk_i32 s16, 0x9a
	v_mad_legacy_u16 v0, v0, s16, v238
	v_lshlrev_b32_e32 v0, 4, v0
	v_add_f64 v[82:83], v[98:99], -v[82:83]
	v_add_f64 v[80:81], v[80:81], v[96:97]
	v_add_f64 v[74:75], v[78:79], -v[74:75]
	v_add_f64 v[72:73], v[72:73], v[76:77]
	ds_write_b128 v0, v[64:67]
	ds_write_b128 v0, v[72:75] offset:352
	ds_write_b128 v0, v[80:83] offset:704
	;; [unrolled: 1-line block ×6, first 2 shown]
.LBB0_11:
	s_or_b64 exec, exec, s[0:1]
	v_lshlrev_b32_e32 v124, 6, v178
	s_waitcnt lgkmcnt(0)
	s_barrier
	global_load_dwordx4 v[80:83], v124, s[6:7] offset:2288
	global_load_dwordx4 v[76:79], v124, s[6:7] offset:2304
	;; [unrolled: 1-line block ×4, first 2 shown]
	ds_read_b128 v[100:103], v179
	ds_read_b128 v[96:99], v179 offset:2464
	ds_read_b128 v[106:109], v179 offset:4928
	;; [unrolled: 1-line block ×9, first 2 shown]
	v_lshl_add_u64 v[104:105], s[6:7], 0, v[124:125]
	s_mov_b32 s16, 0x134454ff
	s_mov_b32 s17, 0x3fee6f0e
	;; [unrolled: 1-line block ×10, first 2 shown]
	s_waitcnt lgkmcnt(0)
	s_barrier
	s_waitcnt vmcnt(3)
	v_mul_f64 v[84:85], v[108:109], v[82:83]
	s_waitcnt vmcnt(2)
	v_mul_f64 v[88:89], v[122:123], v[78:79]
	;; [unrolled: 2-line block ×3, first 2 shown]
	v_mul_f64 v[86:87], v[106:107], v[82:83]
	v_mul_f64 v[90:91], v[120:121], v[78:79]
	s_waitcnt vmcnt(0)
	v_mul_f64 v[124:125], v[140:141], v[66:67]
	v_mul_f64 v[148:149], v[138:139], v[66:67]
	v_fma_f64 v[84:85], v[106:107], v[80:81], -v[84:85]
	v_fma_f64 v[88:89], v[120:121], v[76:77], -v[88:89]
	;; [unrolled: 1-line block ×3, first 2 shown]
	v_mul_f64 v[146:147], v[130:131], v[74:75]
	v_mul_f64 v[150:151], v[112:113], v[82:83]
	;; [unrolled: 1-line block ×3, first 2 shown]
	v_fmac_f64_e32 v[86:87], v[108:109], v[80:81]
	v_fmac_f64_e32 v[90:91], v[122:123], v[76:77]
	v_fma_f64 v[122:123], v[138:139], v[64:65], -v[124:125]
	v_fmac_f64_e32 v[148:149], v[140:141], v[64:65]
	v_add_f64 v[106:107], v[100:101], v[84:85]
	v_add_f64 v[108:109], v[88:89], v[114:115]
	v_mul_f64 v[154:155], v[128:129], v[78:79]
	v_fmac_f64_e32 v[146:147], v[132:133], v[72:73]
	v_fma_f64 v[138:139], v[110:111], v[80:81], -v[150:151]
	v_fmac_f64_e32 v[152:153], v[112:113], v[80:81]
	v_add_f64 v[112:113], v[86:87], -v[148:149]
	v_add_f64 v[110:111], v[84:85], -v[88:89]
	;; [unrolled: 1-line block ×3, first 2 shown]
	v_add_f64 v[132:133], v[106:107], v[88:89]
	v_fma_f64 v[106:107], -0.5, v[108:109], v[100:101]
	v_mul_f64 v[156:157], v[126:127], v[78:79]
	v_fma_f64 v[150:151], v[126:127], v[76:77], -v[154:155]
	v_add_f64 v[126:127], v[90:91], -v[146:147]
	v_add_f64 v[108:109], v[110:111], v[120:121]
	v_fma_f64 v[110:111], s[16:17], v[112:113], v[106:107]
	v_fmac_f64_e32 v[106:107], s[20:21], v[112:113]
	v_fmac_f64_e32 v[110:111], s[0:1], v[126:127]
	;; [unrolled: 1-line block ×5, first 2 shown]
	v_add_f64 v[108:109], v[102:103], v[86:87]
	v_add_f64 v[124:125], v[84:85], v[122:123]
	;; [unrolled: 1-line block ×3, first 2 shown]
	v_fmac_f64_e32 v[100:101], -0.5, v[124:125]
	v_add_f64 v[108:109], v[108:109], v[146:147]
	v_fma_f64 v[120:121], s[20:21], v[126:127], v[100:101]
	v_fmac_f64_e32 v[100:101], s[16:17], v[126:127]
	v_add_f64 v[126:127], v[108:109], v[148:149]
	v_add_f64 v[108:109], v[90:91], v[146:147]
	v_fmac_f64_e32 v[156:157], v[128:129], v[76:77]
	v_add_f64 v[128:129], v[88:89], -v[84:85]
	v_add_f64 v[124:125], v[132:133], v[114:115]
	v_fma_f64 v[108:109], -0.5, v[108:109], v[102:103]
	v_add_f64 v[84:85], v[84:85], -v[122:123]
	v_add_f64 v[130:131], v[114:115], -v[122:123]
	v_add_f64 v[124:125], v[124:125], v[122:123]
	v_fmac_f64_e32 v[120:121], s[0:1], v[112:113]
	v_fmac_f64_e32 v[100:101], s[22:23], v[112:113]
	v_fma_f64 v[112:113], s[20:21], v[84:85], v[108:109]
	v_add_f64 v[88:89], v[88:89], -v[114:115]
	v_add_f64 v[114:115], v[86:87], -v[90:91]
	v_add_f64 v[122:123], v[148:149], -v[146:147]
	v_fmac_f64_e32 v[108:109], s[16:17], v[84:85]
	v_fmac_f64_e32 v[112:113], s[22:23], v[88:89]
	v_add_f64 v[114:115], v[114:115], v[122:123]
	v_fmac_f64_e32 v[108:109], s[0:1], v[88:89]
	v_fmac_f64_e32 v[112:113], s[18:19], v[114:115]
	;; [unrolled: 1-line block ×3, first 2 shown]
	v_add_f64 v[114:115], v[86:87], v[148:149]
	v_fmac_f64_e32 v[102:103], -0.5, v[114:115]
	v_fma_f64 v[122:123], s[16:17], v[88:89], v[102:103]
	v_fmac_f64_e32 v[102:103], s[20:21], v[88:89]
	v_mul_f64 v[158:159], v[136:137], v[74:75]
	v_fmac_f64_e32 v[122:123], s[22:23], v[84:85]
	v_fmac_f64_e32 v[102:103], s[0:1], v[84:85]
	v_add_f64 v[84:85], v[96:97], v[138:139]
	v_mul_f64 v[162:163], v[144:145], v[66:67]
	v_fma_f64 v[154:155], v[134:135], v[72:73], -v[158:159]
	v_add_f64 v[84:85], v[84:85], v[150:151]
	v_mul_f64 v[164:165], v[142:143], v[66:67]
	v_fma_f64 v[142:143], v[142:143], v[64:65], -v[162:163]
	v_add_f64 v[128:129], v[128:129], v[130:131]
	v_add_f64 v[84:85], v[84:85], v[154:155]
	v_mul_f64 v[160:161], v[134:135], v[74:75]
	v_fmac_f64_e32 v[164:165], v[144:145], v[64:65]
	v_fmac_f64_e32 v[120:121], s[18:19], v[128:129]
	;; [unrolled: 1-line block ×3, first 2 shown]
	v_add_f64 v[86:87], v[90:91], -v[86:87]
	v_add_f64 v[90:91], v[146:147], -v[148:149]
	v_add_f64 v[128:129], v[84:85], v[142:143]
	v_add_f64 v[84:85], v[150:151], v[154:155]
	v_fmac_f64_e32 v[160:161], v[136:137], v[72:73]
	v_add_f64 v[86:87], v[86:87], v[90:91]
	v_fma_f64 v[132:133], -0.5, v[84:85], v[96:97]
	v_add_f64 v[84:85], v[152:153], -v[164:165]
	v_fmac_f64_e32 v[122:123], s[18:19], v[86:87]
	v_fmac_f64_e32 v[102:103], s[18:19], v[86:87]
	v_fma_f64 v[136:137], s[16:17], v[84:85], v[132:133]
	v_add_f64 v[86:87], v[156:157], -v[160:161]
	v_add_f64 v[88:89], v[138:139], -v[150:151]
	;; [unrolled: 1-line block ×3, first 2 shown]
	v_fmac_f64_e32 v[132:133], s[20:21], v[84:85]
	v_fmac_f64_e32 v[136:137], s[0:1], v[86:87]
	v_add_f64 v[88:89], v[88:89], v[90:91]
	v_fmac_f64_e32 v[132:133], s[22:23], v[86:87]
	v_fmac_f64_e32 v[136:137], s[18:19], v[88:89]
	;; [unrolled: 1-line block ×3, first 2 shown]
	v_add_f64 v[88:89], v[138:139], v[142:143]
	v_fmac_f64_e32 v[96:97], -0.5, v[88:89]
	v_fma_f64 v[140:141], s[20:21], v[86:87], v[96:97]
	v_fmac_f64_e32 v[96:97], s[16:17], v[86:87]
	v_fmac_f64_e32 v[140:141], s[0:1], v[84:85]
	v_fmac_f64_e32 v[96:97], s[22:23], v[84:85]
	v_add_f64 v[84:85], v[98:99], v[152:153]
	v_add_f64 v[84:85], v[84:85], v[156:157]
	;; [unrolled: 1-line block ×3, first 2 shown]
	v_add_f64 v[88:89], v[150:151], -v[138:139]
	v_add_f64 v[90:91], v[154:155], -v[142:143]
	v_add_f64 v[130:131], v[84:85], v[164:165]
	v_add_f64 v[84:85], v[156:157], v[160:161]
	;; [unrolled: 1-line block ×3, first 2 shown]
	v_fma_f64 v[134:135], -0.5, v[84:85], v[98:99]
	v_add_f64 v[84:85], v[138:139], -v[142:143]
	v_fmac_f64_e32 v[140:141], s[18:19], v[88:89]
	v_fmac_f64_e32 v[96:97], s[18:19], v[88:89]
	v_fma_f64 v[138:139], s[20:21], v[84:85], v[134:135]
	v_add_f64 v[86:87], v[150:151], -v[154:155]
	v_add_f64 v[88:89], v[152:153], -v[156:157]
	;; [unrolled: 1-line block ×3, first 2 shown]
	v_fmac_f64_e32 v[134:135], s[16:17], v[84:85]
	v_fmac_f64_e32 v[138:139], s[22:23], v[86:87]
	v_add_f64 v[88:89], v[88:89], v[90:91]
	v_fmac_f64_e32 v[134:135], s[0:1], v[86:87]
	v_fmac_f64_e32 v[138:139], s[18:19], v[88:89]
	;; [unrolled: 1-line block ×3, first 2 shown]
	v_add_f64 v[88:89], v[152:153], v[164:165]
	v_fmac_f64_e32 v[98:99], -0.5, v[88:89]
	v_fma_f64 v[142:143], s[16:17], v[86:87], v[98:99]
	v_fmac_f64_e32 v[98:99], s[20:21], v[86:87]
	v_fmac_f64_e32 v[142:143], s[22:23], v[84:85]
	;; [unrolled: 1-line block ×3, first 2 shown]
	v_mul_hi_i32_i24_e32 v85, 0xffffffd0, v178
	v_mul_i32_i24_e32 v84, 0xffffffd0, v178
	v_add_f64 v[88:89], v[156:157], -v[152:153]
	v_add_f64 v[90:91], v[160:161], -v[164:165]
	v_lshl_add_u64 v[84:85], v[104:105], 0, v[84:85]
	s_movk_i32 s0, 0x2000
	v_add_f64 v[88:89], v[88:89], v[90:91]
	v_add_co_u32_e32 v86, vcc, s0, v84
	v_fmac_f64_e32 v[98:99], s[18:19], v[88:89]
	s_nop 0
	v_addc_co_u32_e32 v87, vcc, 0, v85, vcc
	s_movk_i32 s0, 0x3000
	v_fmac_f64_e32 v[142:143], s[18:19], v[88:89]
	ds_write_b128 v179, v[124:127]
	ds_write_b128 v179, v[110:113] offset:2464
	ds_write_b128 v179, v[120:123] offset:4928
	;; [unrolled: 1-line block ×9, first 2 shown]
	s_waitcnt lgkmcnt(0)
	s_barrier
	global_load_dwordx4 v[96:99], v[86:87], off offset:3952
	v_add_co_u32_e32 v86, vcc, s0, v84
	s_movk_i32 s0, 0x4000
	s_nop 0
	v_addc_co_u32_e32 v87, vcc, 0, v85, vcc
	global_load_dwordx4 v[100:103], v[86:87], off offset:2320
	v_add_co_u32_e32 v86, vcc, s0, v84
	s_movk_i32 s0, 0x5000
	s_nop 0
	v_addc_co_u32_e32 v87, vcc, 0, v85, vcc
	v_add_co_u32_e32 v84, vcc, s0, v84
	global_load_dwordx4 v[104:107], v[86:87], off offset:688
	global_load_dwordx4 v[108:111], v[86:87], off offset:3152
	v_addc_co_u32_e32 v85, vcc, 0, v85, vcc
	global_load_dwordx4 v[112:115], v[84:85], off offset:1520
	ds_read_b128 v[120:123], v179 offset:12320
	ds_read_b128 v[128:131], v179
	ds_read_b128 v[136:139], v179 offset:2464
	ds_read_b128 v[124:127], v179 offset:14784
	;; [unrolled: 1-line block ×8, first 2 shown]
	s_waitcnt vmcnt(4) lgkmcnt(9)
	v_mul_f64 v[84:85], v[122:123], v[98:99]
	v_fma_f64 v[84:85], v[120:121], v[96:97], -v[84:85]
	v_mul_f64 v[86:87], v[120:121], v[98:99]
	v_fmac_f64_e32 v[86:87], v[122:123], v[96:97]
	s_waitcnt vmcnt(3) lgkmcnt(6)
	v_mul_f64 v[88:89], v[126:127], v[102:103]
	v_mul_f64 v[90:91], v[124:125], v[102:103]
	v_fma_f64 v[88:89], v[124:125], v[100:101], -v[88:89]
	v_fmac_f64_e32 v[90:91], v[126:127], v[100:101]
	v_add_f64 v[124:125], v[128:129], -v[84:85]
	v_add_f64 v[126:127], v[130:131], -v[86:87]
	v_fma_f64 v[122:123], v[130:131], 2.0, -v[126:127]
	s_waitcnt vmcnt(2) lgkmcnt(5)
	v_mul_f64 v[120:121], v[134:135], v[106:107]
	v_fma_f64 v[156:157], v[132:133], v[104:105], -v[120:121]
	s_waitcnt vmcnt(1) lgkmcnt(1)
	v_mul_f64 v[120:121], v[142:143], v[110:111]
	v_mul_f64 v[158:159], v[132:133], v[106:107]
	v_fma_f64 v[164:165], v[140:141], v[108:109], -v[120:121]
	v_mul_f64 v[166:167], v[140:141], v[110:111]
	s_waitcnt vmcnt(0) lgkmcnt(0)
	v_mul_f64 v[120:121], v[150:151], v[114:115]
	v_mul_f64 v[170:171], v[148:149], v[114:115]
	v_fmac_f64_e32 v[158:159], v[134:135], v[104:105]
	v_fmac_f64_e32 v[166:167], v[142:143], v[108:109]
	v_fma_f64 v[168:169], v[148:149], v[112:113], -v[120:121]
	v_fmac_f64_e32 v[170:171], v[150:151], v[112:113]
	v_add_f64 v[132:133], v[136:137], -v[88:89]
	v_add_f64 v[134:135], v[138:139], -v[90:91]
	;; [unrolled: 1-line block ×8, first 2 shown]
	v_fma_f64 v[120:121], v[128:129], 2.0, -v[124:125]
	v_fma_f64 v[128:129], v[136:137], 2.0, -v[132:133]
	;; [unrolled: 1-line block ×9, first 2 shown]
	ds_write_b128 v179, v[120:123]
	ds_write_b128 v179, v[124:127] offset:12320
	ds_write_b128 v179, v[128:131] offset:2464
	ds_write_b128 v179, v[132:135] offset:14784
	ds_write_b128 v179, v[136:139] offset:4928
	ds_write_b128 v179, v[140:143] offset:17248
	ds_write_b128 v179, v[144:147] offset:7392
	ds_write_b128 v179, v[148:151] offset:19712
	ds_write_b128 v179, v[152:155] offset:9856
	ds_write_b128 v179, v[156:159] offset:22176
	s_waitcnt lgkmcnt(0)
	s_barrier
	s_and_saveexec_b64 s[0:1], s[4:5]
	s_cbranch_execz .LBB0_13
; %bb.12:
	v_mov_b32_e32 v177, 0
	v_lshl_add_u64 v[164:165], s[14:15], 0, v[176:177]
	v_add_co_u32_e32 v86, vcc, 0x6000, v164
	ds_read_b128 v[160:163], v179
	s_nop 0
	v_addc_co_u32_e32 v87, vcc, 0, v165, vcc
	global_load_dwordx4 v[166:169], v[86:87], off offset:64
	s_mov_b64 s[6:7], 0x6040
	v_lshl_add_u64 v[84:85], v[164:165], 0, s[6:7]
	s_movk_i32 s6, 0x7000
	s_waitcnt vmcnt(0) lgkmcnt(0)
	v_mul_f64 v[86:87], v[162:163], v[168:169]
	v_mul_f64 v[172:173], v[160:161], v[168:169]
	v_fma_f64 v[170:171], v[160:161], v[166:167], -v[86:87]
	v_fmac_f64_e32 v[172:173], v[162:163], v[166:167]
	global_load_dwordx4 v[166:169], v[84:85], off offset:2240
	ds_write_b128 v179, v[170:173]
	ds_read_b128 v[160:163], v176 offset:2240
	s_waitcnt vmcnt(0) lgkmcnt(0)
	v_mul_f64 v[84:85], v[162:163], v[168:169]
	v_fma_f64 v[170:171], v[160:161], v[166:167], -v[84:85]
	v_add_co_u32_e32 v84, vcc, s6, v164
	v_mul_f64 v[172:173], v[160:161], v[168:169]
	s_nop 0
	v_addc_co_u32_e32 v85, vcc, 0, v165, vcc
	v_fmac_f64_e32 v[172:173], v[162:163], v[166:167]
	global_load_dwordx4 v[166:169], v[84:85], off offset:448
	ds_read_b128 v[160:163], v176 offset:4480
	ds_write_b128 v176, v[170:173] offset:2240
	s_mov_b32 s6, 0x8000
	s_waitcnt vmcnt(0) lgkmcnt(1)
	v_mul_f64 v[86:87], v[162:163], v[168:169]
	v_mul_f64 v[172:173], v[160:161], v[168:169]
	v_fma_f64 v[170:171], v[160:161], v[166:167], -v[86:87]
	v_fmac_f64_e32 v[172:173], v[162:163], v[166:167]
	global_load_dwordx4 v[166:169], v[84:85], off offset:2688
	ds_read_b128 v[160:163], v176 offset:6720
	ds_write_b128 v176, v[170:173] offset:4480
	s_waitcnt vmcnt(0) lgkmcnt(1)
	v_mul_f64 v[84:85], v[162:163], v[168:169]
	v_fma_f64 v[170:171], v[160:161], v[166:167], -v[84:85]
	v_add_co_u32_e32 v84, vcc, s6, v164
	v_mul_f64 v[172:173], v[160:161], v[168:169]
	s_nop 0
	v_addc_co_u32_e32 v85, vcc, 0, v165, vcc
	v_fmac_f64_e32 v[172:173], v[162:163], v[166:167]
	global_load_dwordx4 v[166:169], v[84:85], off offset:832
	ds_read_b128 v[160:163], v176 offset:8960
	ds_write_b128 v176, v[170:173] offset:6720
	s_mov_b32 s6, 0x9000
	s_waitcnt vmcnt(0) lgkmcnt(1)
	v_mul_f64 v[86:87], v[162:163], v[168:169]
	v_mul_f64 v[172:173], v[160:161], v[168:169]
	v_fma_f64 v[170:171], v[160:161], v[166:167], -v[86:87]
	v_fmac_f64_e32 v[172:173], v[162:163], v[166:167]
	global_load_dwordx4 v[166:169], v[84:85], off offset:3072
	ds_read_b128 v[160:163], v176 offset:11200
	ds_write_b128 v176, v[170:173] offset:8960
	;; [unrolled: 20-line block ×4, first 2 shown]
	s_waitcnt vmcnt(0) lgkmcnt(1)
	v_mul_f64 v[84:85], v[162:163], v[168:169]
	v_fma_f64 v[170:171], v[160:161], v[166:167], -v[84:85]
	v_add_co_u32_e32 v84, vcc, s6, v164
	v_mul_f64 v[172:173], v[160:161], v[168:169]
	s_nop 0
	v_addc_co_u32_e32 v85, vcc, 0, v165, vcc
	v_fmac_f64_e32 v[172:173], v[162:163], v[166:167]
	global_load_dwordx4 v[164:167], v[84:85], off offset:1984
	ds_read_b128 v[160:163], v176 offset:22400
	ds_write_b128 v176, v[170:173] offset:20160
	s_waitcnt vmcnt(0) lgkmcnt(1)
	v_mul_f64 v[84:85], v[162:163], v[166:167]
	v_mul_f64 v[170:171], v[160:161], v[166:167]
	v_fma_f64 v[168:169], v[160:161], v[164:165], -v[84:85]
	v_fmac_f64_e32 v[170:171], v[162:163], v[164:165]
	ds_write_b128 v176, v[168:171] offset:22400
.LBB0_13:
	s_or_b64 exec, exec, s[0:1]
	s_waitcnt lgkmcnt(0)
	s_barrier
	s_and_saveexec_b64 s[0:1], s[4:5]
	s_cbranch_execz .LBB0_15
; %bb.14:
	ds_read_b128 v[120:123], v179
	ds_read_b128 v[124:127], v179 offset:2240
	ds_read_b128 v[128:131], v179 offset:4480
	;; [unrolled: 1-line block ×10, first 2 shown]
.LBB0_15:
	s_or_b64 exec, exec, s[0:1]
	s_mov_b32 s28, 0xf8bb580b
	s_waitcnt lgkmcnt(0)
	v_add_f64 v[198:199], v[126:127], -v[118:119]
	s_mov_b32 s6, 0x8764f0ba
	s_mov_b32 s29, 0xbfe14ced
	;; [unrolled: 1-line block ×3, first 2 shown]
	v_add_f64 v[184:185], v[124:125], v[116:117]
	v_add_f64 v[190:191], v[126:127], v[118:119]
	s_mov_b32 s7, 0x3feaeb8c
	v_mul_f64 v[182:183], v[198:199], s[28:29]
	v_add_f64 v[210:211], v[130:131], -v[158:159]
	s_mov_b32 s16, 0xd9c712b6
	s_mov_b32 s21, 0xbfed1bb4
	v_add_f64 v[206:207], v[124:125], -v[116:117]
	v_mul_f64 v[186:187], v[190:191], s[6:7]
	v_fma_f64 v[84:85], v[184:185], s[6:7], -v[182:183]
	v_add_f64 v[192:193], v[128:129], v[156:157]
	v_add_f64 v[200:201], v[130:131], v[158:159]
	s_mov_b32 s17, 0x3fda9628
	v_mul_f64 v[188:189], v[210:211], s[20:21]
	s_mov_b32 s34, 0x43842ef
	v_add_f64 v[84:85], v[120:121], v[84:85]
	v_fma_f64 v[86:87], s[28:29], v[206:207], v[186:187]
	v_add_f64 v[218:219], v[128:129], -v[156:157]
	v_mul_f64 v[194:195], v[200:201], s[16:17]
	v_fma_f64 v[88:89], v[192:193], s[16:17], -v[188:189]
	v_add_f64 v[222:223], v[134:135], -v[154:155]
	s_mov_b32 s18, 0x640f44db
	s_mov_b32 s35, 0xbfefac9e
	v_add_f64 v[86:87], v[122:123], v[86:87]
	v_add_f64 v[84:85], v[88:89], v[84:85]
	v_fma_f64 v[88:89], s[20:21], v[218:219], v[194:195]
	v_add_f64 v[202:203], v[132:133], v[152:153]
	v_add_f64 v[212:213], v[134:135], v[154:155]
	s_mov_b32 s19, 0xbfc2375f
	v_mul_f64 v[196:197], v[222:223], s[34:35]
	s_mov_b32 s26, 0xbb3a28a1
	v_add_f64 v[86:87], v[88:89], v[86:87]
	v_add_f64 v[236:237], v[132:133], -v[152:153]
	v_mul_f64 v[204:205], v[212:213], s[18:19]
	v_fma_f64 v[88:89], v[202:203], s[18:19], -v[196:197]
	v_add_f64 v[244:245], v[138:139], -v[150:151]
	s_mov_b32 s22, 0x7f775887
	s_mov_b32 s27, 0xbfe82f19
	v_add_f64 v[84:85], v[88:89], v[84:85]
	v_fma_f64 v[88:89], s[34:35], v[236:237], v[204:205]
	v_add_f64 v[214:215], v[136:137], v[148:149]
	v_add_f64 v[224:225], v[138:139], v[150:151]
	s_mov_b32 s23, 0xbfe4f49e
	v_mul_f64 v[208:209], v[244:245], s[26:27]
	v_add_f64 v[86:87], v[88:89], v[86:87]
	v_add_f64 v[180:181], v[136:137], -v[148:149]
	v_mul_f64 v[216:217], v[224:225], s[22:23]
	v_fma_f64 v[88:89], v[214:215], s[22:23], -v[208:209]
	v_add_f64 v[226:227], v[142:143], -v[146:147]
	s_mov_b32 s24, 0x9bcd5057
	s_mov_b32 s31, 0xbfd207e7
	;; [unrolled: 1-line block ×3, first 2 shown]
	v_add_f64 v[84:85], v[88:89], v[84:85]
	v_fma_f64 v[88:89], s[26:27], v[180:181], v[216:217]
	v_add_f64 v[232:233], v[140:141], v[144:145]
	v_add_f64 v[248:249], v[142:143], v[146:147]
	s_mov_b32 s25, 0xbfeeb42a
	v_mul_f64 v[220:221], v[226:227], s[30:31]
	v_add_f64 v[86:87], v[88:89], v[86:87]
	v_add_f64 v[230:231], v[140:141], -v[144:145]
	v_mul_f64 v[228:229], v[248:249], s[24:25]
	v_fma_f64 v[88:89], v[232:233], s[24:25], -v[220:221]
	v_add_f64 v[160:161], v[88:89], v[84:85]
	v_fma_f64 v[84:85], s[30:31], v[230:231], v[228:229]
	v_add_f64 v[162:163], v[84:85], v[86:87]
	s_barrier
	s_and_saveexec_b64 s[0:1], s[4:5]
	s_cbranch_execz .LBB0_17
; %bb.16:
	s_mov_b32 s37, 0x3fe14ced
	s_mov_b32 s36, s28
	v_mul_f64 v[172:173], v[206:207], s[30:31]
	v_mul_f64 v[170:171], v[218:219], s[36:37]
	v_accvgpr_write_b32 a0, v174
	v_mov_b32_e32 v177, v175
	v_fma_f64 v[174:175], s[24:25], v[190:191], v[172:173]
	v_accvgpr_write_b32 a28, v92
	s_mov_b32 s39, 0x3fed1bb4
	s_mov_b32 s38, s20
	v_mul_f64 v[168:169], v[236:237], s[26:27]
	v_fma_f64 v[166:167], s[6:7], v[200:201], v[170:171]
	v_add_f64 v[174:175], v[122:123], v[174:175]
	v_accvgpr_write_b32 a6, v250
	v_accvgpr_write_b32 a29, v93
	;; [unrolled: 1-line block ×4, first 2 shown]
	v_mul_f64 v[92:93], v[198:199], s[30:31]
	v_mul_f64 v[88:89], v[180:181], s[38:39]
	v_fma_f64 v[164:165], s[22:23], v[212:213], v[168:169]
	v_add_f64 v[166:167], v[166:167], v[174:175]
	v_accvgpr_write_b32 a7, v251
	v_accvgpr_write_b32 a8, v252
	v_accvgpr_write_b32 a9, v253
	v_mul_f64 v[250:251], v[210:211], s[36:37]
	v_fma_f64 v[94:95], v[184:185], s[24:25], -v[92:93]
	v_mul_f64 v[0:1], v[184:185], s[6:7]
	v_accvgpr_write_b32 a2, v240
	v_mul_f64 v[84:85], v[230:231], s[34:35]
	v_fma_f64 v[90:91], s[16:17], v[224:225], v[88:89]
	v_add_f64 v[164:165], v[164:165], v[166:167]
	v_accvgpr_write_b32 a1, v238
	v_accvgpr_write_b32 a22, v239
	v_mul_f64 v[238:239], v[222:223], s[26:27]
	v_fma_f64 v[252:253], v[192:193], s[6:7], -v[250:251]
	v_add_f64 v[94:95], v[120:121], v[94:95]
	v_accvgpr_write_b32 a41, v1
	v_accvgpr_write_b32 a3, v241
	;; [unrolled: 1-line block ×4, first 2 shown]
	v_fma_f64 v[86:87], s[18:19], v[248:249], v[84:85]
	v_add_f64 v[90:91], v[90:91], v[164:165]
	v_mul_f64 v[174:175], v[244:245], s[38:39]
	v_fma_f64 v[240:241], v[202:203], s[22:23], -v[238:239]
	v_add_f64 v[94:95], v[252:253], v[94:95]
	v_accvgpr_write_b32 a40, v0
	v_mul_f64 v[0:1], v[206:207], s[28:29]
	v_add_f64 v[166:167], v[86:87], v[90:91]
	v_mul_f64 v[86:87], v[226:227], s[34:35]
	v_fma_f64 v[164:165], v[214:215], s[16:17], -v[174:175]
	v_add_f64 v[94:95], v[240:241], v[94:95]
	v_accvgpr_write_b32 a51, v1
	v_fma_f64 v[90:91], v[232:233], s[18:19], -v[86:87]
	v_add_f64 v[94:95], v[164:165], v[94:95]
	v_accvgpr_write_b32 a50, v0
	v_mul_f64 v[0:1], v[192:193], s[16:17]
	v_add_f64 v[164:165], v[90:91], v[94:95]
	v_fma_f64 v[90:91], v[212:213], s[22:23], -v[168:169]
	v_fma_f64 v[168:169], v[190:191], s[24:25], -v[172:173]
	v_accvgpr_write_b32 a43, v1
	v_fma_f64 v[94:95], v[200:201], s[6:7], -v[170:171]
	v_add_f64 v[168:169], v[122:123], v[168:169]
	v_accvgpr_write_b32 a42, v0
	v_mul_f64 v[0:1], v[218:219], s[20:21]
	v_add_f64 v[94:95], v[94:95], v[168:169]
	v_accvgpr_write_b32 a53, v1
	v_fma_f64 v[88:89], v[224:225], s[16:17], -v[88:89]
	v_add_f64 v[90:91], v[90:91], v[94:95]
	v_accvgpr_write_b32 a52, v0
	v_mul_f64 v[0:1], v[202:203], s[18:19]
	v_fma_f64 v[84:85], v[248:249], s[18:19], -v[84:85]
	v_add_f64 v[88:89], v[88:89], v[90:91]
	v_fmac_f64_e32 v[92:93], s[24:25], v[184:185]
	v_accvgpr_write_b32 a45, v1
	v_add_f64 v[170:171], v[84:85], v[88:89]
	v_fmac_f64_e32 v[250:251], s[6:7], v[192:193]
	v_add_f64 v[84:85], v[120:121], v[92:93]
	v_accvgpr_write_b32 a44, v0
	v_mul_f64 v[0:1], v[214:215], s[22:23]
	v_fmac_f64_e32 v[238:239], s[22:23], v[202:203]
	v_add_f64 v[84:85], v[250:251], v[84:85]
	v_accvgpr_write_b32 a47, v1
	v_fmac_f64_e32 v[174:175], s[16:17], v[214:215]
	v_add_f64 v[84:85], v[238:239], v[84:85]
	s_mov_b32 s41, 0x3fefac9e
	s_mov_b32 s40, s34
	v_mul_f64 v[240:241], v[206:207], s[26:27]
	v_accvgpr_write_b32 a46, v0
	v_mul_f64 v[0:1], v[232:233], s[24:25]
	v_add_f64 v[84:85], v[174:175], v[84:85]
	v_mul_f64 v[238:239], v[218:219], s[40:41]
	v_fma_f64 v[174:175], s[22:23], v[190:191], v[240:241]
	v_accvgpr_write_b32 a49, v1
	v_mul_f64 v[92:93], v[236:237], s[28:29]
	v_fma_f64 v[172:173], s[18:19], v[200:201], v[238:239]
	v_add_f64 v[174:175], v[122:123], v[174:175]
	v_mul_f64 v[4:5], v[198:199], s[26:27]
	v_accvgpr_write_b32 a48, v0
	v_fmac_f64_e32 v[86:87], s[18:19], v[232:233]
	v_mul_f64 v[88:89], v[180:181], s[30:31]
	v_fma_f64 v[94:95], s[6:7], v[212:213], v[92:93]
	v_add_f64 v[172:173], v[172:173], v[174:175]
	v_mul_f64 v[0:1], v[210:211], s[40:41]
	v_fma_f64 v[6:7], v[184:185], s[22:23], -v[4:5]
	v_add_f64 v[168:169], v[86:87], v[84:85]
	v_mul_f64 v[84:85], v[230:231], s[38:39]
	v_fma_f64 v[90:91], s[24:25], v[224:225], v[88:89]
	v_add_f64 v[94:95], v[94:95], v[172:173]
	v_mul_f64 v[250:251], v[222:223], s[28:29]
	v_fma_f64 v[2:3], v[192:193], s[18:19], -v[0:1]
	v_add_f64 v[6:7], v[120:121], v[6:7]
	v_fma_f64 v[86:87], s[16:17], v[248:249], v[84:85]
	v_add_f64 v[90:91], v[90:91], v[94:95]
	v_mul_f64 v[94:95], v[244:245], s[30:31]
	v_fma_f64 v[252:253], v[202:203], s[6:7], -v[250:251]
	v_add_f64 v[2:3], v[2:3], v[6:7]
	v_add_f64 v[174:175], v[86:87], v[90:91]
	v_mul_f64 v[90:91], v[226:227], s[38:39]
	v_fma_f64 v[172:173], v[214:215], s[24:25], -v[94:95]
	v_add_f64 v[2:3], v[252:253], v[2:3]
	v_fma_f64 v[86:87], v[232:233], s[16:17], -v[90:91]
	v_add_f64 v[2:3], v[172:173], v[2:3]
	v_fma_f64 v[6:7], v[224:225], s[24:25], -v[88:89]
	v_fma_f64 v[88:89], v[190:191], s[22:23], -v[240:241]
	v_add_f64 v[172:173], v[86:87], v[2:3]
	v_fma_f64 v[86:87], v[200:201], s[18:19], -v[238:239]
	v_add_f64 v[88:89], v[122:123], v[88:89]
	v_fma_f64 v[2:3], v[248:249], s[16:17], -v[84:85]
	v_fma_f64 v[84:85], v[212:213], s[6:7], -v[92:93]
	v_add_f64 v[86:87], v[86:87], v[88:89]
	v_add_f64 v[84:85], v[84:85], v[86:87]
	;; [unrolled: 1-line block ×3, first 2 shown]
	v_fmac_f64_e32 v[4:5], s[22:23], v[184:185]
	v_add_f64 v[86:87], v[2:3], v[6:7]
	v_fmac_f64_e32 v[0:1], s[18:19], v[192:193]
	v_add_f64 v[2:3], v[120:121], v[4:5]
	;; [unrolled: 2-line block ×3, first 2 shown]
	v_accvgpr_write_b32 a25, v254
	v_accvgpr_write_b32 a26, v255
	v_mul_f64 v[254:255], v[230:231], s[30:31]
	v_add_f64 v[0:1], v[250:251], v[0:1]
	s_mov_b32 s31, 0x3fd207e7
	v_mul_f64 v[250:251], v[206:207], s[34:35]
	v_fmac_f64_e32 v[94:95], s[24:25], v[214:215]
	v_mul_f64 v[92:93], v[218:219], s[30:31]
	v_fma_f64 v[238:239], s[18:19], v[190:191], v[250:251]
	v_fmac_f64_e32 v[90:91], s[16:17], v[232:233]
	v_add_f64 v[0:1], v[94:95], v[0:1]
	v_mul_f64 v[88:89], v[236:237], s[38:39]
	v_fma_f64 v[94:95], s[24:25], v[200:201], v[92:93]
	v_add_f64 v[238:239], v[122:123], v[238:239]
	v_mul_f64 v[16:17], v[198:199], s[34:35]
	v_add_f64 v[84:85], v[90:91], v[0:1]
	v_mul_f64 v[4:5], v[180:181], s[28:29]
	v_fma_f64 v[90:91], s[16:17], v[212:213], v[88:89]
	v_add_f64 v[94:95], v[94:95], v[238:239]
	v_mul_f64 v[12:13], v[210:211], s[30:31]
	v_fma_f64 v[18:19], v[184:185], s[18:19], -v[16:17]
	v_mul_f64 v[0:1], v[230:231], s[26:27]
	v_fma_f64 v[6:7], s[6:7], v[224:225], v[4:5]
	v_add_f64 v[90:91], v[90:91], v[94:95]
	v_mul_f64 v[8:9], v[222:223], s[38:39]
	v_fma_f64 v[14:15], v[192:193], s[24:25], -v[12:13]
	v_add_f64 v[18:19], v[120:121], v[18:19]
	v_fma_f64 v[2:3], s[22:23], v[248:249], v[0:1]
	v_add_f64 v[6:7], v[6:7], v[90:91]
	v_mul_f64 v[90:91], v[244:245], s[28:29]
	v_fma_f64 v[10:11], v[202:203], s[16:17], -v[8:9]
	v_add_f64 v[14:15], v[14:15], v[18:19]
	v_add_f64 v[240:241], v[2:3], v[6:7]
	v_mul_f64 v[2:3], v[226:227], s[26:27]
	v_fma_f64 v[94:95], v[214:215], s[6:7], -v[90:91]
	v_add_f64 v[10:11], v[10:11], v[14:15]
	v_fma_f64 v[6:7], v[232:233], s[22:23], -v[2:3]
	v_add_f64 v[10:11], v[94:95], v[10:11]
	;; [unrolled: 2-line block ×7, first 2 shown]
	v_fmac_f64_e32 v[16:17], s[18:19], v[184:185]
	v_add_f64 v[252:253], v[0:1], v[4:5]
	v_fmac_f64_e32 v[12:13], s[24:25], v[192:193]
	v_add_f64 v[0:1], v[120:121], v[16:17]
	v_mul_f64 v[16:17], v[206:207], s[20:21]
	v_fmac_f64_e32 v[8:9], s[16:17], v[202:203]
	v_add_f64 v[0:1], v[12:13], v[0:1]
	v_mul_f64 v[12:13], v[218:219], s[26:27]
	v_fma_f64 v[18:19], s[16:17], v[190:191], v[16:17]
	v_accvgpr_write_b32 a23, v246
	v_accvgpr_write_b32 a24, v247
	v_mul_f64 v[246:247], v[180:181], s[26:27]
	v_fmac_f64_e32 v[90:91], s[6:7], v[214:215]
	v_add_f64 v[0:1], v[8:9], v[0:1]
	v_mul_f64 v[4:5], v[180:181], s[40:41]
	v_mul_f64 v[8:9], v[236:237], s[30:31]
	v_fma_f64 v[14:15], s[22:23], v[200:201], v[12:13]
	v_add_f64 v[18:19], v[122:123], v[18:19]
	v_mul_f64 v[180:181], v[198:199], s[20:21]
	v_fmac_f64_e32 v[2:3], s[22:23], v[232:233]
	v_add_f64 v[0:1], v[90:91], v[0:1]
	v_fma_f64 v[10:11], s[24:25], v[212:213], v[8:9]
	v_add_f64 v[14:15], v[14:15], v[18:19]
	v_mul_f64 v[92:93], v[210:211], s[26:27]
	v_fma_f64 v[198:199], v[184:185], s[16:17], -v[180:181]
	v_add_f64 v[250:251], v[2:3], v[0:1]
	v_mul_f64 v[0:1], v[230:231], s[36:37]
	v_fma_f64 v[6:7], s[18:19], v[224:225], v[4:5]
	v_add_f64 v[10:11], v[10:11], v[14:15]
	v_mul_f64 v[18:19], v[222:223], s[30:31]
	v_fma_f64 v[94:95], v[192:193], s[22:23], -v[92:93]
	v_add_f64 v[198:199], v[120:121], v[198:199]
	v_fma_f64 v[2:3], s[6:7], v[248:249], v[0:1]
	v_add_f64 v[6:7], v[6:7], v[10:11]
	v_mul_f64 v[10:11], v[244:245], s[40:41]
	v_fma_f64 v[88:89], v[202:203], s[24:25], -v[18:19]
	v_add_f64 v[94:95], v[94:95], v[198:199]
	v_add_f64 v[90:91], v[2:3], v[6:7]
	v_mul_f64 v[2:3], v[226:227], s[36:37]
	v_fma_f64 v[14:15], v[214:215], s[18:19], -v[10:11]
	v_add_f64 v[88:89], v[88:89], v[94:95]
	v_fma_f64 v[6:7], v[232:233], s[6:7], -v[2:3]
	v_add_f64 v[14:15], v[14:15], v[88:89]
	v_add_f64 v[88:89], v[6:7], v[14:15]
	v_fma_f64 v[6:7], v[212:213], s[24:25], -v[8:9]
	v_fma_f64 v[8:9], v[200:201], s[22:23], -v[12:13]
	;; [unrolled: 1-line block ×3, first 2 shown]
	v_add_f64 v[12:13], v[122:123], v[12:13]
	v_add_f64 v[8:9], v[8:9], v[12:13]
	v_fma_f64 v[4:5], v[224:225], s[18:19], -v[4:5]
	v_add_f64 v[6:7], v[6:7], v[8:9]
	v_fma_f64 v[0:1], v[248:249], s[6:7], -v[0:1]
	v_add_f64 v[4:5], v[4:5], v[6:7]
	v_fmac_f64_e32 v[180:181], s[16:17], v[184:185]
	v_accvgpr_read_b32 v8, a50
	v_add_f64 v[200:201], v[0:1], v[4:5]
	v_fmac_f64_e32 v[92:93], s[22:23], v[192:193]
	v_add_f64 v[0:1], v[120:121], v[180:181]
	v_accvgpr_read_b32 v6, a52
	v_accvgpr_read_b32 v9, a51
	v_fmac_f64_e32 v[18:19], s[24:25], v[202:203]
	v_add_f64 v[0:1], v[92:93], v[0:1]
	v_accvgpr_read_b32 v7, a53
	v_add_f64 v[8:9], v[186:187], -v[8:9]
	v_mul_f64 v[242:243], v[236:237], s[34:35]
	v_fmac_f64_e32 v[10:11], s[18:19], v[214:215]
	v_add_f64 v[0:1], v[18:19], v[0:1]
	v_add_f64 v[6:7], v[194:195], -v[6:7]
	v_add_f64 v[8:9], v[122:123], v[8:9]
	v_fmac_f64_e32 v[2:3], s[6:7], v[232:233]
	v_add_f64 v[0:1], v[10:11], v[0:1]
	v_add_f64 v[4:5], v[204:205], -v[242:243]
	v_add_f64 v[6:7], v[6:7], v[8:9]
	v_accvgpr_read_b32 v8, a40
	v_add_f64 v[198:199], v[2:3], v[0:1]
	v_add_f64 v[2:3], v[216:217], -v[246:247]
	v_add_f64 v[4:5], v[4:5], v[6:7]
	v_accvgpr_read_b32 v6, a42
	v_accvgpr_read_b32 v9, a41
	v_add_f64 v[0:1], v[228:229], -v[254:255]
	v_add_f64 v[2:3], v[2:3], v[4:5]
	v_accvgpr_read_b32 v4, a44
	v_accvgpr_read_b32 v7, a43
	v_add_f64 v[8:9], v[8:9], v[182:183]
	v_add_f64 v[184:185], v[0:1], v[2:3]
	v_accvgpr_read_b32 v2, a46
	v_accvgpr_read_b32 v5, a45
	v_add_f64 v[6:7], v[6:7], v[188:189]
	;; [unrolled: 4-line block ×3, first 2 shown]
	v_add_f64 v[6:7], v[6:7], v[8:9]
	v_accvgpr_read_b32 v1, a49
	v_add_f64 v[2:3], v[2:3], v[208:209]
	v_add_f64 v[4:5], v[4:5], v[6:7]
	;; [unrolled: 1-line block ×25, first 2 shown]
	v_lshlrev_b32_e32 v0, 4, v235
	v_accvgpr_read_b32 v95, a31
	ds_write_b128 v0, v[116:119]
	ds_write_b128 v0, v[182:185] offset:16
	ds_write_b128 v0, v[198:201] offset:32
	;; [unrolled: 1-line block ×3, first 2 shown]
	v_accvgpr_read_b32 v253, a9
	ds_write_b128 v0, v[84:87] offset:64
	ds_write_b128 v0, v[168:171] offset:80
	;; [unrolled: 1-line block ×5, first 2 shown]
	v_accvgpr_read_b32 v243, a5
	v_accvgpr_read_b32 v94, a30
	;; [unrolled: 1-line block ×11, first 2 shown]
	v_mov_b32_e32 v175, v177
	v_accvgpr_read_b32 v174, a0
	v_accvgpr_read_b32 v239, a22
	;; [unrolled: 1-line block ×6, first 2 shown]
	ds_write_b128 v0, v[88:91] offset:144
	ds_write_b128 v0, v[160:163] offset:160
.LBB0_17:
	s_or_b64 exec, exec, s[0:1]
	s_waitcnt lgkmcnt(0)
	s_barrier
	ds_read_b128 v[84:87], v179 offset:12320
	ds_read_b128 v[88:91], v179
	ds_read_b128 v[116:119], v179 offset:2464
	ds_read_b128 v[120:123], v179 offset:14784
	;; [unrolled: 1-line block ×8, first 2 shown]
	s_waitcnt lgkmcnt(9)
	v_mul_f64 v[0:1], v[42:43], v[86:87]
	v_mul_f64 v[2:3], v[42:43], v[84:85]
	s_waitcnt lgkmcnt(6)
	v_mul_f64 v[4:5], v[38:39], v[122:123]
	v_mul_f64 v[6:7], v[38:39], v[120:121]
	v_fmac_f64_e32 v[0:1], v[40:41], v[84:85]
	v_fma_f64 v[2:3], v[40:41], v[86:87], -v[2:3]
	v_fmac_f64_e32 v[4:5], v[36:37], v[120:121]
	v_fma_f64 v[6:7], v[36:37], v[122:123], -v[6:7]
	s_waitcnt lgkmcnt(5)
	v_mul_f64 v[8:9], v[30:31], v[126:127]
	v_mul_f64 v[10:11], v[30:31], v[124:125]
	s_waitcnt lgkmcnt(1)
	v_mul_f64 v[12:13], v[26:27], v[142:143]
	v_mul_f64 v[14:15], v[26:27], v[140:141]
	v_fmac_f64_e32 v[8:9], v[28:29], v[124:125]
	v_fma_f64 v[10:11], v[28:29], v[126:127], -v[10:11]
	v_fmac_f64_e32 v[12:13], v[24:25], v[140:141]
	v_fma_f64 v[14:15], v[24:25], v[142:143], -v[14:15]
	s_waitcnt lgkmcnt(0)
	v_mul_f64 v[16:17], v[34:35], v[146:147]
	v_mul_f64 v[18:19], v[34:35], v[144:145]
	v_add_f64 v[36:37], v[88:89], -v[0:1]
	v_add_f64 v[38:39], v[90:91], -v[2:3]
	;; [unrolled: 1-line block ×4, first 2 shown]
	v_fmac_f64_e32 v[16:17], v[32:33], v[144:145]
	v_fma_f64 v[18:19], v[32:33], v[146:147], -v[18:19]
	v_fma_f64 v[40:41], v[88:89], 2.0, -v[36:37]
	v_fma_f64 v[42:43], v[90:91], 2.0, -v[38:39]
	;; [unrolled: 1-line block ×4, first 2 shown]
	v_add_f64 v[116:117], v[128:129], -v[8:9]
	v_add_f64 v[118:119], v[130:131], -v[10:11]
	;; [unrolled: 1-line block ×4, first 2 shown]
	v_fma_f64 v[120:121], v[128:129], 2.0, -v[116:117]
	v_fma_f64 v[122:123], v[130:131], 2.0, -v[118:119]
	;; [unrolled: 1-line block ×4, first 2 shown]
	v_add_f64 v[28:29], v[136:137], -v[16:17]
	v_add_f64 v[30:31], v[138:139], -v[18:19]
	v_fma_f64 v[32:33], v[136:137], 2.0, -v[28:29]
	v_fma_f64 v[34:35], v[138:139], 2.0, -v[30:31]
	s_barrier
	ds_write_b128 v239, v[40:43]
	ds_write_b128 v239, v[36:39] offset:176
	ds_write_b128 v246, v[88:91]
	ds_write_b128 v246, v[84:87] offset:176
	;; [unrolled: 2-line block ×5, first 2 shown]
	s_waitcnt lgkmcnt(0)
	s_barrier
	ds_read_b128 v[36:39], v179
	ds_read_b128 v[132:135], v179 offset:3520
	ds_read_b128 v[128:131], v179 offset:7040
	;; [unrolled: 1-line block ×6, first 2 shown]
	s_and_saveexec_b64 s[0:1], s[2:3]
	s_cbranch_execz .LBB0_19
; %bb.18:
	ds_read_b128 v[24:27], v179 offset:2464
	ds_read_b128 v[32:35], v179 offset:5984
	;; [unrolled: 1-line block ×7, first 2 shown]
.LBB0_19:
	s_or_b64 exec, exec, s[0:1]
	s_waitcnt lgkmcnt(1)
	v_mul_f64 v[16:17], v[50:51], v[118:119]
	v_mul_f64 v[18:19], v[50:51], v[116:117]
	v_fmac_f64_e32 v[16:17], v[48:49], v[116:117]
	v_fma_f64 v[18:19], v[48:49], v[118:119], -v[18:19]
	s_waitcnt lgkmcnt(0)
	v_mul_f64 v[48:49], v[46:47], v[42:43]
	v_mul_f64 v[0:1], v[70:71], v[134:135]
	;; [unrolled: 1-line block ×4, first 2 shown]
	v_fmac_f64_e32 v[48:49], v[44:45], v[40:41]
	v_mul_f64 v[40:41], v[46:47], v[40:41]
	v_fmac_f64_e32 v[0:1], v[68:69], v[132:133]
	v_fma_f64 v[2:3], v[68:69], v[134:135], -v[2:3]
	v_fmac_f64_e32 v[4:5], v[60:61], v[128:129]
	v_mul_f64 v[6:7], v[62:63], v[128:129]
	v_mul_f64 v[8:9], v[58:59], v[126:127]
	;; [unrolled: 1-line block ×3, first 2 shown]
	v_fma_f64 v[40:41], v[44:45], v[42:43], -v[40:41]
	v_fma_f64 v[6:7], v[60:61], v[130:131], -v[6:7]
	v_fmac_f64_e32 v[8:9], v[56:57], v[124:125]
	v_mul_f64 v[10:11], v[58:59], v[124:125]
	v_fmac_f64_e32 v[12:13], v[52:53], v[120:121]
	v_mul_f64 v[14:15], v[54:55], v[120:121]
	v_add_f64 v[42:43], v[0:1], v[48:49]
	v_add_f64 v[44:45], v[2:3], v[40:41]
	v_add_f64 v[2:3], v[2:3], -v[40:41]
	v_add_f64 v[40:41], v[4:5], v[16:17]
	v_fma_f64 v[10:11], v[56:57], v[126:127], -v[10:11]
	v_fma_f64 v[14:15], v[52:53], v[122:123], -v[14:15]
	v_add_f64 v[46:47], v[6:7], v[18:19]
	v_add_f64 v[4:5], v[4:5], -v[16:17]
	v_add_f64 v[16:17], v[8:9], v[12:13]
	v_add_f64 v[8:9], v[12:13], -v[8:9]
	;; [unrolled: 2-line block ×4, first 2 shown]
	v_add_f64 v[14:15], v[46:47], v[44:45]
	v_add_f64 v[12:13], v[16:17], v[12:13]
	s_mov_b32 s20, 0xe976ee23
	v_add_f64 v[0:1], v[0:1], -v[48:49]
	v_add_f64 v[56:57], v[8:9], -v[4:5]
	v_add_f64 v[14:15], v[18:19], v[14:15]
	v_add_f64 v[36:37], v[36:37], v[12:13]
	s_mov_b32 s16, 0x37e14327
	s_mov_b32 s18, 0x36b3c0b5
	;; [unrolled: 1-line block ×5, first 2 shown]
	v_add_f64 v[48:49], v[40:41], -v[42:43]
	v_add_f64 v[50:51], v[46:47], -v[44:45]
	;; [unrolled: 1-line block ×6, first 2 shown]
	v_add_f64 v[52:53], v[8:9], v[4:5]
	v_add_f64 v[54:55], v[10:11], v[6:7]
	v_add_f64 v[58:59], v[10:11], -v[6:7]
	v_add_f64 v[4:5], v[4:5], -v[0:1]
	v_add_f64 v[6:7], v[6:7], -v[2:3]
	v_add_f64 v[38:39], v[38:39], v[14:15]
	s_mov_b32 s17, 0x3fe948f6
	s_mov_b32 s19, 0x3fac98ee
	v_mul_f64 v[62:63], v[56:57], s[20:21]
	s_mov_b32 s1, 0xbfebfeb5
	s_mov_b32 s29, 0xbff2aaaa
	v_mov_b64_e32 v[56:57], v[36:37]
	s_mov_b32 s6, 0x5476071b
	s_mov_b32 s30, 0xb247c609
	v_add_f64 v[8:9], v[0:1], -v[8:9]
	v_add_f64 v[10:11], v[2:3], -v[10:11]
	v_add_f64 v[0:1], v[52:53], v[0:1]
	v_add_f64 v[2:3], v[54:55], v[2:3]
	v_mul_f64 v[16:17], v[42:43], s[16:17]
	v_mul_f64 v[18:19], v[44:45], s[16:17]
	;; [unrolled: 1-line block ×7, first 2 shown]
	v_fmac_f64_e32 v[56:57], s[28:29], v[12:13]
	v_mov_b64_e32 v[12:13], v[38:39]
	s_mov_b32 s7, 0x3fe77f67
	s_mov_b32 s23, 0xbfe77f67
	s_mov_b32 s22, s6
	s_mov_b32 s31, 0xbfd5d0dc
	s_mov_b32 s27, 0x3fd5d0dc
	s_mov_b32 s26, s30
	s_mov_b32 s24, 0x37c3f68c
	v_fmac_f64_e32 v[12:13], s[28:29], v[14:15]
	v_fma_f64 v[14:15], v[48:49], s[6:7], -v[42:43]
	v_fma_f64 v[42:43], v[50:51], s[6:7], -v[44:45]
	;; [unrolled: 1-line block ×3, first 2 shown]
	v_fmac_f64_e32 v[16:17], s[18:19], v[40:41]
	v_fma_f64 v[40:41], v[50:51], s[22:23], -v[18:19]
	v_fmac_f64_e32 v[18:19], s[18:19], v[46:47]
	v_fma_f64 v[4:5], v[4:5], s[0:1], -v[62:63]
	;; [unrolled: 2-line block ×4, first 2 shown]
	v_fma_f64 v[10:11], v[10:11], s[26:27], -v[54:55]
	s_mov_b32 s25, 0xbfdc38aa
	v_add_f64 v[16:17], v[16:17], v[56:57]
	v_add_f64 v[18:19], v[18:19], v[12:13]
	;; [unrolled: 1-line block ×6, first 2 shown]
	v_fmac_f64_e32 v[62:63], s[24:25], v[0:1]
	v_fmac_f64_e32 v[60:61], s[24:25], v[2:3]
	v_fmac_f64_e32 v[4:5], s[24:25], v[0:1]
	v_fmac_f64_e32 v[6:7], s[24:25], v[2:3]
	v_fmac_f64_e32 v[8:9], s[24:25], v[0:1]
	v_fmac_f64_e32 v[10:11], s[24:25], v[2:3]
	v_add_f64 v[40:41], v[60:61], v[16:17]
	v_add_f64 v[42:43], v[18:19], -v[62:63]
	v_add_f64 v[44:45], v[10:11], v[56:57]
	v_add_f64 v[46:47], v[12:13], -v[8:9]
	v_add_f64 v[48:49], v[14:15], -v[6:7]
	v_add_f64 v[50:51], v[4:5], v[54:55]
	v_add_f64 v[52:53], v[6:7], v[14:15]
	v_add_f64 v[54:55], v[54:55], -v[4:5]
	v_add_f64 v[56:57], v[56:57], -v[10:11]
	v_add_f64 v[58:59], v[8:9], v[12:13]
	v_add_f64 v[60:61], v[16:17], -v[60:61]
	v_add_f64 v[62:63], v[62:63], v[18:19]
	s_barrier
	ds_write_b128 v234, v[36:39]
	ds_write_b128 v234, v[40:43] offset:352
	ds_write_b128 v234, v[44:47] offset:704
	;; [unrolled: 1-line block ×6, first 2 shown]
	s_and_saveexec_b64 s[34:35], s[2:3]
	s_cbranch_execz .LBB0_21
; %bb.20:
	v_accvgpr_read_b32 v51, a17
	v_accvgpr_read_b32 v63, a39
	;; [unrolled: 1-line block ×12, first 2 shown]
	v_mul_f64 v[0:1], v[50:51], v[34:35]
	v_accvgpr_read_b32 v61, a37
	v_accvgpr_read_b32 v60, a36
	v_mul_f64 v[4:5], v[22:23], v[62:63]
	v_mul_f64 v[10:11], v[242:243], v[94:95]
	;; [unrolled: 1-line block ×3, first 2 shown]
	v_accvgpr_read_b32 v45, a11
	v_accvgpr_read_b32 v44, a10
	v_mul_f64 v[16:17], v[46:47], v[30:31]
	v_accvgpr_read_b32 v53, a19
	v_accvgpr_read_b32 v52, a18
	;; [unrolled: 1-line block ×4, first 2 shown]
	v_mul_f64 v[18:19], v[54:55], v[58:59]
	v_fmac_f64_e32 v[0:1], v[48:49], v[32:33]
	v_fmac_f64_e32 v[4:5], v[20:21], v[60:61]
	;; [unrolled: 1-line block ×6, first 2 shown]
	v_add_f64 v[8:9], v[0:1], -v[4:5]
	v_add_f64 v[2:3], v[10:11], -v[12:13]
	;; [unrolled: 1-line block ×5, first 2 shown]
	v_add_f64 v[2:3], v[2:3], v[36:37]
	v_add_f64 v[42:43], v[2:3], v[8:9]
	v_mul_f64 v[2:3], v[22:23], v[60:61]
	v_fma_f64 v[20:21], v[20:21], v[62:63], -v[2:3]
	v_mul_f64 v[2:3], v[50:51], v[32:33]
	v_fma_f64 v[22:23], v[48:49], v[34:35], -v[2:3]
	v_mul_f64 v[2:3], v[54:55], v[56:57]
	v_mul_f64 v[38:39], v[6:7], s[20:21]
	v_fma_f64 v[34:35], v[52:53], v[58:59], -v[2:3]
	v_mul_f64 v[2:3], v[46:47], v[28:29]
	v_mul_f64 v[6:7], v[252:253], v[160:161]
	v_fma_f64 v[28:29], v[44:45], v[30:31], -v[2:3]
	v_fma_f64 v[44:45], v[250:251], v[162:163], -v[6:7]
	v_mul_f64 v[6:7], v[242:243], v[92:93]
	v_add_f64 v[54:55], v[0:1], v[4:5]
	v_add_f64 v[16:17], v[16:17], v[18:19]
	;; [unrolled: 1-line block ×4, first 2 shown]
	v_fma_f64 v[46:47], v[240:241], v[94:95], -v[6:7]
	v_add_f64 v[0:1], v[16:17], v[54:55]
	v_add_f64 v[4:5], v[12:13], v[10:11]
	;; [unrolled: 1-line block ×8, first 2 shown]
	v_mov_b64_e32 v[12:13], v[0:1]
	v_mov_b64_e32 v[26:27], v[2:3]
	v_fmac_f64_e32 v[12:13], s[28:29], v[10:11]
	v_add_f64 v[10:11], v[54:55], -v[4:5]
	v_add_f64 v[36:37], v[36:37], -v[8:9]
	v_fmac_f64_e32 v[26:27], s[28:29], v[48:49]
	v_add_f64 v[48:49], v[32:33], -v[6:7]
	v_mul_f64 v[18:19], v[10:11], s[16:17]
	v_add_f64 v[4:5], v[4:5], -v[16:17]
	v_mul_f64 v[8:9], v[36:37], s[0:1]
	v_fma_f64 v[40:41], s[30:31], v[14:15], v[38:39]
	v_mul_f64 v[48:49], v[48:49], s[16:17]
	v_mul_f64 v[24:25], v[4:5], s[18:19]
	v_fma_f64 v[4:5], s[18:19], v[4:5], v[18:19]
	v_fma_f64 v[58:59], v[14:15], s[26:27], -v[8:9]
	v_add_f64 v[14:15], v[30:31], -v[32:33]
	v_add_f64 v[6:7], v[6:7], -v[30:31]
	v_add_f64 v[56:57], v[4:5], v[12:13]
	v_add_f64 v[20:21], v[22:23], -v[20:21]
	v_add_f64 v[4:5], v[46:47], -v[44:45]
	;; [unrolled: 1-line block ×3, first 2 shown]
	v_fma_f64 v[8:9], v[14:15], s[22:23], -v[48:49]
	v_add_f64 v[16:17], v[16:17], -v[54:55]
	v_mul_f64 v[50:51], v[6:7], s[18:19]
	v_add_f64 v[10:11], v[4:5], -v[28:29]
	v_add_f64 v[30:31], v[8:9], v[26:27]
	v_fma_f64 v[8:9], v[16:17], s[22:23], -v[18:19]
	v_add_f64 v[18:19], v[28:29], -v[20:21]
	v_fma_f64 v[6:7], s[18:19], v[6:7], v[48:49]
	v_add_f64 v[22:23], v[20:21], -v[4:5]
	v_mul_f64 v[34:35], v[10:11], s[20:21]
	v_add_f64 v[4:5], v[4:5], v[28:29]
	v_add_f64 v[32:33], v[8:9], v[12:13]
	v_mul_f64 v[8:9], v[18:19], s[0:1]
	v_fma_f64 v[14:15], v[14:15], s[6:7], -v[50:51]
	v_add_f64 v[52:53], v[6:7], v[26:27]
	v_fma_f64 v[44:45], s[30:31], v[22:23], v[34:35]
	v_add_f64 v[46:47], v[4:5], v[20:21]
	v_fma_f64 v[20:21], v[22:23], s[26:27], -v[8:9]
	v_add_f64 v[22:23], v[14:15], v[26:27]
	v_fma_f64 v[26:27], v[36:37], s[0:1], -v[38:39]
	v_fma_f64 v[16:17], v[16:17], s[6:7], -v[24:25]
	;; [unrolled: 1-line block ×3, first 2 shown]
	s_movk_i32 s0, 0x9a
	v_mad_legacy_u16 v28, v175, s0, v238
	v_fmac_f64_e32 v[40:41], s[24:25], v[42:43]
	v_fmac_f64_e32 v[44:45], s[24:25], v[46:47]
	v_fmac_f64_e32 v[58:59], s[24:25], v[42:43]
	v_fmac_f64_e32 v[20:21], s[24:25], v[46:47]
	v_fmac_f64_e32 v[26:27], s[24:25], v[42:43]
	v_add_f64 v[16:17], v[16:17], v[12:13]
	v_fmac_f64_e32 v[24:25], s[24:25], v[46:47]
	v_lshlrev_b32_e32 v28, 4, v28
	v_add_f64 v[6:7], v[40:41], v[52:53]
	v_add_f64 v[4:5], v[56:57], -v[44:45]
	v_add_f64 v[10:11], v[58:59], v[30:31]
	v_add_f64 v[8:9], v[32:33], -v[20:21]
	v_add_f64 v[14:15], v[22:23], -v[26:27]
	v_add_f64 v[12:13], v[24:25], v[16:17]
	v_add_f64 v[18:19], v[26:27], v[22:23]
	v_add_f64 v[16:17], v[16:17], -v[24:25]
	v_add_f64 v[22:23], v[30:31], -v[58:59]
	v_add_f64 v[20:21], v[20:21], v[32:33]
	v_add_f64 v[26:27], v[52:53], -v[40:41]
	v_add_f64 v[24:25], v[44:45], v[56:57]
	ds_write_b128 v28, v[0:3]
	ds_write_b128 v28, v[24:27] offset:352
	ds_write_b128 v28, v[20:23] offset:704
	;; [unrolled: 1-line block ×6, first 2 shown]
.LBB0_21:
	s_or_b64 exec, exec, s[34:35]
	s_waitcnt lgkmcnt(0)
	s_barrier
	ds_read_b128 v[0:3], v179
	ds_read_b128 v[4:7], v179 offset:2464
	ds_read_b128 v[8:11], v179 offset:4928
	ds_read_b128 v[12:15], v179 offset:7392
	ds_read_b128 v[16:19], v179 offset:9856
	ds_read_b128 v[20:23], v179 offset:12320
	ds_read_b128 v[24:27], v179 offset:14784
	ds_read_b128 v[28:31], v179 offset:17248
	ds_read_b128 v[32:35], v179 offset:19712
	ds_read_b128 v[36:39], v179 offset:22176
	s_waitcnt lgkmcnt(7)
	v_mul_f64 v[40:41], v[82:83], v[10:11]
	v_fmac_f64_e32 v[40:41], v[80:81], v[8:9]
	v_mul_f64 v[8:9], v[82:83], v[8:9]
	v_fma_f64 v[42:43], v[80:81], v[10:11], -v[8:9]
	s_waitcnt lgkmcnt(5)
	v_mul_f64 v[8:9], v[78:79], v[16:17]
	v_mul_f64 v[44:45], v[78:79], v[18:19]
	v_fma_f64 v[46:47], v[76:77], v[18:19], -v[8:9]
	s_waitcnt lgkmcnt(3)
	v_mul_f64 v[48:49], v[74:75], v[26:27]
	v_mul_f64 v[8:9], v[74:75], v[24:25]
	v_fmac_f64_e32 v[44:45], v[76:77], v[16:17]
	v_fmac_f64_e32 v[48:49], v[72:73], v[24:25]
	v_fma_f64 v[24:25], v[72:73], v[26:27], -v[8:9]
	s_waitcnt lgkmcnt(1)
	v_mul_f64 v[8:9], v[66:67], v[32:33]
	v_mul_f64 v[18:19], v[66:67], v[34:35]
	v_fma_f64 v[26:27], v[64:65], v[34:35], -v[8:9]
	v_mul_f64 v[34:35], v[82:83], v[14:15]
	v_mul_f64 v[8:9], v[82:83], v[12:13]
	v_add_f64 v[10:11], v[44:45], v[48:49]
	s_mov_b32 s2, 0x134454ff
	v_fmac_f64_e32 v[18:19], v[64:65], v[32:33]
	v_fmac_f64_e32 v[34:35], v[80:81], v[12:13]
	v_fma_f64 v[50:51], v[80:81], v[14:15], -v[8:9]
	v_mul_f64 v[52:53], v[78:79], v[22:23]
	v_mul_f64 v[8:9], v[78:79], v[20:21]
	v_fma_f64 v[12:13], -0.5, v[10:11], v[0:1]
	v_add_f64 v[10:11], v[42:43], -v[26:27]
	s_mov_b32 s3, 0xbfee6f0e
	s_mov_b32 s0, 0x4755a5e
	;; [unrolled: 1-line block ×4, first 2 shown]
	v_fmac_f64_e32 v[52:53], v[76:77], v[20:21]
	v_fma_f64 v[54:55], v[76:77], v[22:23], -v[8:9]
	v_fma_f64 v[16:17], s[2:3], v[10:11], v[12:13]
	v_add_f64 v[14:15], v[46:47], -v[24:25]
	s_mov_b32 s1, 0xbfe2cf23
	v_add_f64 v[20:21], v[40:41], -v[44:45]
	v_add_f64 v[22:23], v[18:19], -v[48:49]
	s_mov_b32 s6, 0x372fe950
	v_fmac_f64_e32 v[12:13], s[16:17], v[10:11]
	s_mov_b32 s19, 0x3fe2cf23
	s_mov_b32 s18, s0
	v_mul_f64 v[8:9], v[74:75], v[28:29]
	v_fmac_f64_e32 v[16:17], s[0:1], v[14:15]
	v_add_f64 v[20:21], v[20:21], v[22:23]
	s_mov_b32 s7, 0x3fd3c6ef
	v_fmac_f64_e32 v[12:13], s[18:19], v[14:15]
	v_fma_f64 v[58:59], v[72:73], v[30:31], -v[8:9]
	s_waitcnt lgkmcnt(0)
	v_mul_f64 v[8:9], v[66:67], v[36:37]
	v_fmac_f64_e32 v[16:17], s[6:7], v[20:21]
	v_fmac_f64_e32 v[12:13], s[6:7], v[20:21]
	v_add_f64 v[20:21], v[40:41], v[18:19]
	v_mul_f64 v[56:57], v[74:75], v[30:31]
	v_fma_f64 v[62:63], v[64:65], v[38:39], -v[8:9]
	v_add_f64 v[8:9], v[0:1], v[40:41]
	v_fmac_f64_e32 v[0:1], -0.5, v[20:21]
	v_fmac_f64_e32 v[56:57], v[72:73], v[28:29]
	v_add_f64 v[8:9], v[8:9], v[44:45]
	v_fma_f64 v[20:21], s[16:17], v[14:15], v[0:1]
	v_add_f64 v[22:23], v[44:45], -v[40:41]
	v_add_f64 v[28:29], v[48:49], -v[18:19]
	v_fmac_f64_e32 v[0:1], s[2:3], v[14:15]
	v_add_f64 v[14:15], v[46:47], v[24:25]
	v_add_f64 v[8:9], v[8:9], v[48:49]
	v_fmac_f64_e32 v[20:21], s[0:1], v[10:11]
	v_add_f64 v[22:23], v[22:23], v[28:29]
	v_fmac_f64_e32 v[0:1], s[18:19], v[10:11]
	v_fma_f64 v[14:15], -0.5, v[14:15], v[2:3]
	v_add_f64 v[28:29], v[40:41], -v[18:19]
	v_add_f64 v[8:9], v[8:9], v[18:19]
	v_fmac_f64_e32 v[20:21], s[6:7], v[22:23]
	v_fmac_f64_e32 v[0:1], s[6:7], v[22:23]
	v_fma_f64 v[18:19], s[16:17], v[28:29], v[14:15]
	v_add_f64 v[30:31], v[44:45], -v[48:49]
	v_add_f64 v[22:23], v[42:43], -v[46:47]
	;; [unrolled: 1-line block ×3, first 2 shown]
	v_fmac_f64_e32 v[14:15], s[2:3], v[28:29]
	v_add_f64 v[10:11], v[2:3], v[42:43]
	v_fmac_f64_e32 v[18:19], s[18:19], v[30:31]
	v_add_f64 v[22:23], v[22:23], v[32:33]
	;; [unrolled: 2-line block ×3, first 2 shown]
	v_fmac_f64_e32 v[18:19], s[6:7], v[22:23]
	v_fmac_f64_e32 v[14:15], s[6:7], v[22:23]
	v_add_f64 v[22:23], v[42:43], v[26:27]
	v_add_f64 v[10:11], v[10:11], v[24:25]
	v_fmac_f64_e32 v[2:3], -0.5, v[22:23]
	v_mul_f64 v[60:61], v[66:67], v[38:39]
	v_add_f64 v[10:11], v[10:11], v[26:27]
	v_fma_f64 v[22:23], s[2:3], v[30:31], v[2:3]
	v_add_f64 v[24:25], v[24:25], -v[26:27]
	v_fmac_f64_e32 v[2:3], s[16:17], v[30:31]
	v_add_f64 v[26:27], v[52:53], v[56:57]
	v_fmac_f64_e32 v[60:61], v[64:65], v[36:37]
	v_fmac_f64_e32 v[22:23], s[18:19], v[28:29]
	v_add_f64 v[32:33], v[46:47], -v[42:43]
	v_fmac_f64_e32 v[2:3], s[0:1], v[28:29]
	v_fma_f64 v[28:29], -0.5, v[26:27], v[4:5]
	v_add_f64 v[26:27], v[50:51], -v[62:63]
	v_add_f64 v[24:25], v[32:33], v[24:25]
	v_fma_f64 v[32:33], s[2:3], v[26:27], v[28:29]
	v_add_f64 v[30:31], v[54:55], -v[58:59]
	v_add_f64 v[36:37], v[34:35], -v[52:53]
	;; [unrolled: 1-line block ×3, first 2 shown]
	v_fmac_f64_e32 v[28:29], s[16:17], v[26:27]
	v_fmac_f64_e32 v[32:33], s[0:1], v[30:31]
	v_add_f64 v[36:37], v[36:37], v[38:39]
	v_fmac_f64_e32 v[28:29], s[18:19], v[30:31]
	v_fmac_f64_e32 v[32:33], s[6:7], v[36:37]
	v_fmac_f64_e32 v[28:29], s[6:7], v[36:37]
	v_add_f64 v[36:37], v[34:35], v[60:61]
	v_fmac_f64_e32 v[22:23], s[6:7], v[24:25]
	v_fmac_f64_e32 v[2:3], s[6:7], v[24:25]
	v_add_f64 v[24:25], v[4:5], v[34:35]
	v_fmac_f64_e32 v[4:5], -0.5, v[36:37]
	v_fma_f64 v[36:37], s[16:17], v[30:31], v[4:5]
	v_add_f64 v[38:39], v[52:53], -v[34:35]
	v_add_f64 v[40:41], v[56:57], -v[60:61]
	v_fmac_f64_e32 v[4:5], s[2:3], v[30:31]
	v_add_f64 v[30:31], v[54:55], v[58:59]
	v_fmac_f64_e32 v[36:37], s[0:1], v[26:27]
	v_add_f64 v[38:39], v[38:39], v[40:41]
	v_fmac_f64_e32 v[4:5], s[18:19], v[26:27]
	v_fma_f64 v[30:31], -0.5, v[30:31], v[6:7]
	v_add_f64 v[40:41], v[34:35], -v[60:61]
	v_fmac_f64_e32 v[36:37], s[6:7], v[38:39]
	v_fmac_f64_e32 v[4:5], s[6:7], v[38:39]
	v_fma_f64 v[34:35], s[16:17], v[40:41], v[30:31]
	v_add_f64 v[42:43], v[52:53], -v[56:57]
	v_add_f64 v[38:39], v[50:51], -v[54:55]
	;; [unrolled: 1-line block ×3, first 2 shown]
	v_fmac_f64_e32 v[30:31], s[2:3], v[40:41]
	v_fmac_f64_e32 v[34:35], s[18:19], v[42:43]
	v_add_f64 v[38:39], v[38:39], v[44:45]
	v_fmac_f64_e32 v[30:31], s[0:1], v[42:43]
	v_fmac_f64_e32 v[34:35], s[6:7], v[38:39]
	;; [unrolled: 1-line block ×3, first 2 shown]
	v_add_f64 v[38:39], v[50:51], v[62:63]
	v_add_f64 v[26:27], v[6:7], v[50:51]
	v_fmac_f64_e32 v[6:7], -0.5, v[38:39]
	v_add_f64 v[24:25], v[24:25], v[52:53]
	v_add_f64 v[26:27], v[26:27], v[54:55]
	v_fma_f64 v[38:39], s[2:3], v[42:43], v[6:7]
	v_add_f64 v[44:45], v[54:55], -v[50:51]
	v_add_f64 v[46:47], v[58:59], -v[62:63]
	v_fmac_f64_e32 v[6:7], s[16:17], v[42:43]
	v_add_f64 v[24:25], v[24:25], v[56:57]
	v_add_f64 v[26:27], v[26:27], v[58:59]
	v_fmac_f64_e32 v[38:39], s[18:19], v[40:41]
	v_add_f64 v[44:45], v[44:45], v[46:47]
	v_fmac_f64_e32 v[6:7], s[0:1], v[40:41]
	v_add_f64 v[24:25], v[24:25], v[60:61]
	v_add_f64 v[26:27], v[26:27], v[62:63]
	v_fmac_f64_e32 v[38:39], s[6:7], v[44:45]
	v_fmac_f64_e32 v[6:7], s[6:7], v[44:45]
	s_barrier
	ds_write_b128 v179, v[8:11]
	ds_write_b128 v179, v[16:19] offset:2464
	ds_write_b128 v179, v[20:23] offset:4928
	ds_write_b128 v179, v[0:3] offset:7392
	ds_write_b128 v179, v[12:15] offset:9856
	ds_write_b128 v179, v[24:27] offset:12320
	ds_write_b128 v179, v[32:35] offset:14784
	ds_write_b128 v179, v[36:39] offset:17248
	ds_write_b128 v179, v[4:7] offset:19712
	ds_write_b128 v179, v[28:31] offset:22176
	s_waitcnt lgkmcnt(0)
	s_barrier
	ds_read_b128 v[0:3], v179 offset:12320
	ds_read_b128 v[4:7], v179
	ds_read_b128 v[8:11], v179 offset:2464
	ds_read_b128 v[12:15], v179 offset:14784
	;; [unrolled: 1-line block ×8, first 2 shown]
	s_waitcnt lgkmcnt(9)
	v_mul_f64 v[40:41], v[98:99], v[2:3]
	v_fmac_f64_e32 v[40:41], v[96:97], v[0:1]
	v_mul_f64 v[0:1], v[98:99], v[0:1]
	v_fma_f64 v[2:3], v[96:97], v[2:3], -v[0:1]
	s_waitcnt lgkmcnt(6)
	v_mul_f64 v[0:1], v[102:103], v[12:13]
	v_mul_f64 v[42:43], v[102:103], v[14:15]
	v_fma_f64 v[14:15], v[100:101], v[14:15], -v[0:1]
	s_waitcnt lgkmcnt(5)
	v_mul_f64 v[0:1], v[106:107], v[16:17]
	;; [unrolled: 4-line block ×4, first 2 shown]
	v_mul_f64 v[0:1], v[114:115], v[36:37]
	v_fmac_f64_e32 v[42:43], v[100:101], v[12:13]
	v_fmac_f64_e32 v[44:45], v[104:105], v[16:17]
	;; [unrolled: 1-line block ×4, first 2 shown]
	v_fma_f64 v[38:39], v[112:113], v[38:39], -v[0:1]
	v_add_f64 v[0:1], v[4:5], -v[40:41]
	v_add_f64 v[2:3], v[6:7], -v[2:3]
	v_fma_f64 v[4:5], v[4:5], 2.0, -v[0:1]
	v_fma_f64 v[6:7], v[6:7], 2.0, -v[2:3]
	v_add_f64 v[12:13], v[8:9], -v[42:43]
	v_add_f64 v[14:15], v[10:11], -v[14:15]
	v_add_f64 v[16:17], v[20:21], -v[44:45]
	v_add_f64 v[18:19], v[22:23], -v[18:19]
	v_add_f64 v[32:33], v[24:25], -v[46:47]
	v_add_f64 v[34:35], v[26:27], -v[34:35]
	v_add_f64 v[36:37], v[28:29], -v[48:49]
	v_add_f64 v[38:39], v[30:31], -v[38:39]
	v_fma_f64 v[8:9], v[8:9], 2.0, -v[12:13]
	v_fma_f64 v[10:11], v[10:11], 2.0, -v[14:15]
	;; [unrolled: 1-line block ×8, first 2 shown]
	ds_write_b128 v179, v[4:7]
	ds_write_b128 v179, v[0:3] offset:12320
	ds_write_b128 v179, v[8:11] offset:2464
	;; [unrolled: 1-line block ×9, first 2 shown]
	s_waitcnt lgkmcnt(0)
	s_barrier
	s_and_b64 exec, exec, s[4:5]
	s_cbranch_execz .LBB0_23
; %bb.22:
	v_mov_b32_e32 v177, 0
	global_load_dwordx4 v[0:3], v176, s[14:15]
	global_load_dwordx4 v[4:7], v176, s[14:15] offset:2240
	s_movk_i32 s0, 0x1000
	v_lshl_add_u64 v[20:21], s[14:15], 0, v[176:177]
	v_add_co_u32_e32 v16, vcc, s0, v20
	v_mad_u64_u32 v[24:25], s[0:1], s10, v174, 0
	s_nop 0
	v_addc_co_u32_e32 v17, vcc, 0, v21, vcc
	global_load_dwordx4 v[8:11], v[16:17], off offset:384
	global_load_dwordx4 v[12:15], v[16:17], off offset:2624
	s_movk_i32 s0, 0x2000
	v_add_co_u32_e32 v38, vcc, s0, v20
	v_mad_u64_u32 v[58:59], s[2:3], s8, v178, 0
	s_nop 0
	v_addc_co_u32_e32 v39, vcc, 0, v21, vcc
	global_load_dwordx4 v[16:19], v[38:39], off offset:768
	ds_read_b128 v[26:29], v179
	ds_read_b128 v[30:33], v176 offset:2240
	ds_read_b128 v[34:37], v176 offset:4480
	s_movk_i32 s3, 0x3000
	global_load_dwordx4 v[38:41], v[38:39], off offset:3008
	v_add_co_u32_e32 v50, vcc, s3, v20
	v_mov_b32_e32 v42, v25
	s_nop 0
	v_addc_co_u32_e32 v51, vcc, 0, v21, vcc
	v_mad_u64_u32 v[48:49], s[4:5], s11, v174, v[42:43]
	global_load_dwordx4 v[42:45], v[50:51], off offset:1152
	v_mov_b32_e32 v46, v59
	v_mad_u64_u32 v[52:53], s[4:5], s9, v178, v[46:47]
	v_mov_b32_e32 v25, v48
	global_load_dwordx4 v[46:49], v[50:51], off offset:3392
	s_movk_i32 s6, 0x4000
	v_add_co_u32_e32 v60, vcc, s6, v20
	v_mov_b32_e32 v59, v52
	s_nop 0
	v_addc_co_u32_e32 v61, vcc, 0, v21, vcc
	global_load_dwordx4 v[50:53], v[60:61], off offset:1536
	global_load_dwordx4 v[54:57], v[60:61], off offset:3776
	v_mov_b32_e32 v22, s12
	v_mov_b32_e32 v23, s13
	s_mov_b32 s0, 0xe6bb82fe
	v_lshl_add_u64 v[22:23], v[24:25], 4, v[22:23]
	s_mov_b32 s1, 0x3f454725
	v_mov_b32_e32 v64, 0x8c0
	s_movk_i32 s7, 0x5000
	v_lshl_add_u64 v[22:23], v[58:59], 4, v[22:23]
	s_mul_i32 s2, s9, 0x8c0
	v_add_co_u32_e32 v20, vcc, s7, v20
	v_mad_u64_u32 v[24:25], s[4:5], s8, v64, v[22:23]
	s_nop 0
	v_addc_co_u32_e32 v21, vcc, 0, v21, vcc
	v_add_u32_e32 v25, s2, v25
	v_mad_u64_u32 v[58:59], s[4:5], s8, v64, v[24:25]
	v_add_u32_e32 v59, s2, v59
	s_waitcnt vmcnt(9) lgkmcnt(2)
	v_mul_f64 v[60:61], v[28:29], v[2:3]
	v_mul_f64 v[2:3], v[26:27], v[2:3]
	s_waitcnt vmcnt(8) lgkmcnt(1)
	v_mul_f64 v[62:63], v[32:33], v[6:7]
	v_mul_f64 v[6:7], v[30:31], v[6:7]
	v_fmac_f64_e32 v[60:61], v[26:27], v[0:1]
	v_fma_f64 v[2:3], v[0:1], v[28:29], -v[2:3]
	v_fmac_f64_e32 v[62:63], v[30:31], v[4:5]
	v_fma_f64 v[6:7], v[4:5], v[32:33], -v[6:7]
	v_mul_f64 v[0:1], v[60:61], s[0:1]
	v_mul_f64 v[2:3], v[2:3], s[0:1]
	;; [unrolled: 1-line block ×4, first 2 shown]
	global_store_dwordx4 v[22:23], v[0:3], off
	global_store_dwordx4 v[24:25], v[4:7], off
	ds_read_b128 v[4:7], v176 offset:6720
	s_waitcnt vmcnt(9) lgkmcnt(1)
	v_mul_f64 v[0:1], v[36:37], v[10:11]
	v_mul_f64 v[2:3], v[34:35], v[10:11]
	v_fmac_f64_e32 v[0:1], v[34:35], v[8:9]
	v_fma_f64 v[2:3], v[8:9], v[36:37], -v[2:3]
	global_load_dwordx4 v[8:11], v[20:21], off offset:1920
	v_mul_f64 v[0:1], v[0:1], s[0:1]
	v_mul_f64 v[2:3], v[2:3], s[0:1]
	global_store_dwordx4 v[58:59], v[0:3], off
	ds_read_b128 v[0:3], v176 offset:8960
	s_waitcnt vmcnt(10) lgkmcnt(1)
	v_mul_f64 v[20:21], v[6:7], v[14:15]
	v_fmac_f64_e32 v[20:21], v[4:5], v[12:13]
	v_mul_f64 v[4:5], v[4:5], v[14:15]
	v_fma_f64 v[4:5], v[12:13], v[6:7], -v[4:5]
	v_mul_f64 v[22:23], v[4:5], s[0:1]
	s_waitcnt vmcnt(9) lgkmcnt(0)
	v_mul_f64 v[4:5], v[2:3], v[18:19]
	v_fmac_f64_e32 v[4:5], v[0:1], v[16:17]
	v_mul_f64 v[0:1], v[0:1], v[18:19]
	v_mad_u64_u32 v[12:13], s[4:5], s8, v64, v[58:59]
	v_fma_f64 v[0:1], v[16:17], v[2:3], -v[0:1]
	v_add_u32_e32 v13, s2, v13
	v_mul_f64 v[6:7], v[0:1], s[0:1]
	ds_read_b128 v[0:3], v176 offset:11200
	v_mad_u64_u32 v[16:17], s[4:5], s8, v64, v[12:13]
	v_mul_f64 v[20:21], v[20:21], s[0:1]
	v_mul_f64 v[4:5], v[4:5], s[0:1]
	v_add_u32_e32 v17, s2, v17
	global_store_dwordx4 v[12:13], v[20:23], off
	global_store_dwordx4 v[16:17], v[4:7], off
	ds_read_b128 v[4:7], v176 offset:13440
	s_waitcnt vmcnt(10) lgkmcnt(1)
	v_mul_f64 v[12:13], v[2:3], v[40:41]
	v_fmac_f64_e32 v[12:13], v[0:1], v[38:39]
	v_mul_f64 v[0:1], v[0:1], v[40:41]
	v_fma_f64 v[0:1], v[38:39], v[2:3], -v[0:1]
	v_mul_f64 v[14:15], v[0:1], s[0:1]
	v_mad_u64_u32 v[16:17], s[4:5], s8, v64, v[16:17]
	s_waitcnt vmcnt(9) lgkmcnt(0)
	v_mul_f64 v[0:1], v[6:7], v[44:45]
	v_mul_f64 v[2:3], v[4:5], v[44:45]
	;; [unrolled: 1-line block ×3, first 2 shown]
	v_add_u32_e32 v17, s2, v17
	v_fmac_f64_e32 v[0:1], v[4:5], v[42:43]
	v_fma_f64 v[2:3], v[42:43], v[6:7], -v[2:3]
	ds_read_b128 v[4:7], v176 offset:15680
	global_store_dwordx4 v[16:17], v[12:15], off
	v_mad_u64_u32 v[16:17], s[4:5], s8, v64, v[16:17]
	v_mul_f64 v[0:1], v[0:1], s[0:1]
	v_mul_f64 v[2:3], v[2:3], s[0:1]
	v_add_u32_e32 v17, s2, v17
	global_store_dwordx4 v[16:17], v[0:3], off
	ds_read_b128 v[0:3], v176 offset:17920
	s_waitcnt vmcnt(10) lgkmcnt(1)
	v_mul_f64 v[12:13], v[6:7], v[48:49]
	v_fmac_f64_e32 v[12:13], v[4:5], v[46:47]
	v_mul_f64 v[4:5], v[4:5], v[48:49]
	v_fma_f64 v[4:5], v[46:47], v[6:7], -v[4:5]
	v_mul_f64 v[14:15], v[4:5], s[0:1]
	s_waitcnt vmcnt(9) lgkmcnt(0)
	v_mul_f64 v[4:5], v[2:3], v[52:53]
	v_fmac_f64_e32 v[4:5], v[0:1], v[50:51]
	v_mul_f64 v[0:1], v[0:1], v[52:53]
	v_mad_u64_u32 v[16:17], s[4:5], s8, v64, v[16:17]
	v_fma_f64 v[0:1], v[50:51], v[2:3], -v[0:1]
	v_mul_f64 v[12:13], v[12:13], s[0:1]
	v_add_u32_e32 v17, s2, v17
	v_mul_f64 v[6:7], v[0:1], s[0:1]
	ds_read_b128 v[0:3], v176 offset:20160
	global_store_dwordx4 v[16:17], v[12:15], off
	v_mad_u64_u32 v[16:17], s[4:5], s8, v64, v[16:17]
	v_mul_f64 v[4:5], v[4:5], s[0:1]
	v_add_u32_e32 v17, s2, v17
	global_store_dwordx4 v[16:17], v[4:7], off
	ds_read_b128 v[4:7], v176 offset:22400
	s_waitcnt vmcnt(10) lgkmcnt(1)
	v_mul_f64 v[12:13], v[2:3], v[56:57]
	v_fmac_f64_e32 v[12:13], v[0:1], v[54:55]
	v_mul_f64 v[0:1], v[0:1], v[56:57]
	v_fma_f64 v[0:1], v[54:55], v[2:3], -v[0:1]
	v_mul_f64 v[14:15], v[0:1], s[0:1]
	v_mad_u64_u32 v[16:17], s[4:5], s8, v64, v[16:17]
	v_add_u32_e32 v17, s2, v17
	v_mul_f64 v[12:13], v[12:13], s[0:1]
	s_waitcnt vmcnt(7) lgkmcnt(0)
	v_mul_f64 v[0:1], v[6:7], v[10:11]
	v_mul_f64 v[2:3], v[4:5], v[10:11]
	v_fmac_f64_e32 v[0:1], v[4:5], v[8:9]
	v_fma_f64 v[2:3], v[8:9], v[6:7], -v[2:3]
	v_mul_f64 v[0:1], v[0:1], s[0:1]
	v_mul_f64 v[2:3], v[2:3], s[0:1]
	v_mad_u64_u32 v[4:5], s[0:1], s8, v64, v[16:17]
	v_add_u32_e32 v5, s2, v5
	global_store_dwordx4 v[16:17], v[12:15], off
	global_store_dwordx4 v[4:5], v[0:3], off
.LBB0_23:
	s_endpgm
	.section	.rodata,"a",@progbits
	.p2align	6, 0x0
	.amdhsa_kernel bluestein_single_back_len1540_dim1_dp_op_CI_CI
		.amdhsa_group_segment_fixed_size 24640
		.amdhsa_private_segment_fixed_size 0
		.amdhsa_kernarg_size 104
		.amdhsa_user_sgpr_count 2
		.amdhsa_user_sgpr_dispatch_ptr 0
		.amdhsa_user_sgpr_queue_ptr 0
		.amdhsa_user_sgpr_kernarg_segment_ptr 1
		.amdhsa_user_sgpr_dispatch_id 0
		.amdhsa_user_sgpr_kernarg_preload_length 0
		.amdhsa_user_sgpr_kernarg_preload_offset 0
		.amdhsa_user_sgpr_private_segment_size 0
		.amdhsa_uses_dynamic_stack 0
		.amdhsa_enable_private_segment 0
		.amdhsa_system_sgpr_workgroup_id_x 1
		.amdhsa_system_sgpr_workgroup_id_y 0
		.amdhsa_system_sgpr_workgroup_id_z 0
		.amdhsa_system_sgpr_workgroup_info 0
		.amdhsa_system_vgpr_workitem_id 0
		.amdhsa_next_free_vgpr 310
		.amdhsa_next_free_sgpr 44
		.amdhsa_accum_offset 256
		.amdhsa_reserve_vcc 1
		.amdhsa_float_round_mode_32 0
		.amdhsa_float_round_mode_16_64 0
		.amdhsa_float_denorm_mode_32 3
		.amdhsa_float_denorm_mode_16_64 3
		.amdhsa_dx10_clamp 1
		.amdhsa_ieee_mode 1
		.amdhsa_fp16_overflow 0
		.amdhsa_tg_split 0
		.amdhsa_exception_fp_ieee_invalid_op 0
		.amdhsa_exception_fp_denorm_src 0
		.amdhsa_exception_fp_ieee_div_zero 0
		.amdhsa_exception_fp_ieee_overflow 0
		.amdhsa_exception_fp_ieee_underflow 0
		.amdhsa_exception_fp_ieee_inexact 0
		.amdhsa_exception_int_div_zero 0
	.end_amdhsa_kernel
	.text
.Lfunc_end0:
	.size	bluestein_single_back_len1540_dim1_dp_op_CI_CI, .Lfunc_end0-bluestein_single_back_len1540_dim1_dp_op_CI_CI
                                        ; -- End function
	.section	.AMDGPU.csdata,"",@progbits
; Kernel info:
; codeLenInByte = 18448
; NumSgprs: 50
; NumVgprs: 256
; NumAgprs: 54
; TotalNumVgprs: 310
; ScratchSize: 0
; MemoryBound: 0
; FloatMode: 240
; IeeeMode: 1
; LDSByteSize: 24640 bytes/workgroup (compile time only)
; SGPRBlocks: 6
; VGPRBlocks: 38
; NumSGPRsForWavesPerEU: 50
; NumVGPRsForWavesPerEU: 310
; AccumOffset: 256
; Occupancy: 1
; WaveLimiterHint : 1
; COMPUTE_PGM_RSRC2:SCRATCH_EN: 0
; COMPUTE_PGM_RSRC2:USER_SGPR: 2
; COMPUTE_PGM_RSRC2:TRAP_HANDLER: 0
; COMPUTE_PGM_RSRC2:TGID_X_EN: 1
; COMPUTE_PGM_RSRC2:TGID_Y_EN: 0
; COMPUTE_PGM_RSRC2:TGID_Z_EN: 0
; COMPUTE_PGM_RSRC2:TIDIG_COMP_CNT: 0
; COMPUTE_PGM_RSRC3_GFX90A:ACCUM_OFFSET: 63
; COMPUTE_PGM_RSRC3_GFX90A:TG_SPLIT: 0
	.text
	.p2alignl 6, 3212836864
	.fill 256, 4, 3212836864
	.type	__hip_cuid_1c95bd6184c787c,@object ; @__hip_cuid_1c95bd6184c787c
	.section	.bss,"aw",@nobits
	.globl	__hip_cuid_1c95bd6184c787c
__hip_cuid_1c95bd6184c787c:
	.byte	0                               ; 0x0
	.size	__hip_cuid_1c95bd6184c787c, 1

	.ident	"AMD clang version 19.0.0git (https://github.com/RadeonOpenCompute/llvm-project roc-6.4.0 25133 c7fe45cf4b819c5991fe208aaa96edf142730f1d)"
	.section	".note.GNU-stack","",@progbits
	.addrsig
	.addrsig_sym __hip_cuid_1c95bd6184c787c
	.amdgpu_metadata
---
amdhsa.kernels:
  - .agpr_count:     54
    .args:
      - .actual_access:  read_only
        .address_space:  global
        .offset:         0
        .size:           8
        .value_kind:     global_buffer
      - .actual_access:  read_only
        .address_space:  global
        .offset:         8
        .size:           8
        .value_kind:     global_buffer
      - .actual_access:  read_only
        .address_space:  global
        .offset:         16
        .size:           8
        .value_kind:     global_buffer
      - .actual_access:  read_only
        .address_space:  global
        .offset:         24
        .size:           8
        .value_kind:     global_buffer
      - .actual_access:  read_only
        .address_space:  global
        .offset:         32
        .size:           8
        .value_kind:     global_buffer
      - .offset:         40
        .size:           8
        .value_kind:     by_value
      - .address_space:  global
        .offset:         48
        .size:           8
        .value_kind:     global_buffer
      - .address_space:  global
        .offset:         56
        .size:           8
        .value_kind:     global_buffer
      - .address_space:  global
        .offset:         64
        .size:           8
        .value_kind:     global_buffer
      - .address_space:  global
        .offset:         72
        .size:           8
        .value_kind:     global_buffer
      - .offset:         80
        .size:           4
        .value_kind:     by_value
      - .address_space:  global
        .offset:         88
        .size:           8
        .value_kind:     global_buffer
      - .address_space:  global
        .offset:         96
        .size:           8
        .value_kind:     global_buffer
    .group_segment_fixed_size: 24640
    .kernarg_segment_align: 8
    .kernarg_segment_size: 104
    .language:       OpenCL C
    .language_version:
      - 2
      - 0
    .max_flat_workgroup_size: 154
    .name:           bluestein_single_back_len1540_dim1_dp_op_CI_CI
    .private_segment_fixed_size: 0
    .sgpr_count:     50
    .sgpr_spill_count: 0
    .symbol:         bluestein_single_back_len1540_dim1_dp_op_CI_CI.kd
    .uniform_work_group_size: 1
    .uses_dynamic_stack: false
    .vgpr_count:     310
    .vgpr_spill_count: 0
    .wavefront_size: 64
amdhsa.target:   amdgcn-amd-amdhsa--gfx950
amdhsa.version:
  - 1
  - 2
...

	.end_amdgpu_metadata
